;; amdgpu-corpus repo=ROCm/rocFFT kind=compiled arch=gfx906 opt=O3
	.text
	.amdgcn_target "amdgcn-amd-amdhsa--gfx906"
	.amdhsa_code_object_version 6
	.protected	bluestein_single_back_len825_dim1_sp_op_CI_CI ; -- Begin function bluestein_single_back_len825_dim1_sp_op_CI_CI
	.globl	bluestein_single_back_len825_dim1_sp_op_CI_CI
	.p2align	8
	.type	bluestein_single_back_len825_dim1_sp_op_CI_CI,@function
bluestein_single_back_len825_dim1_sp_op_CI_CI: ; @bluestein_single_back_len825_dim1_sp_op_CI_CI
; %bb.0:
	s_load_dwordx4 s[8:11], s[4:5], 0x28
	v_mul_u32_u24_e32 v1, 0x4a8, v0
	v_add_u32_sdwa v118, s6, v1 dst_sel:DWORD dst_unused:UNUSED_PAD src0_sel:DWORD src1_sel:WORD_1
	v_mov_b32_e32 v119, 0
	s_waitcnt lgkmcnt(0)
	v_cmp_gt_u64_e32 vcc, s[8:9], v[118:119]
	s_and_saveexec_b64 s[0:1], vcc
	s_cbranch_execz .LBB0_15
; %bb.1:
	s_load_dwordx4 s[0:3], s[4:5], 0x18
	v_mov_b32_e32 v2, 55
	v_mul_lo_u16_sdwa v1, v1, v2 dst_sel:DWORD dst_unused:UNUSED_PAD src0_sel:WORD_1 src1_sel:DWORD
	v_sub_u16_e32 v132, v0, v1
	v_lshlrev_b32_e32 v131, 3, v132
	s_waitcnt lgkmcnt(0)
	s_load_dwordx4 s[12:15], s[0:1], 0x0
	s_waitcnt lgkmcnt(0)
	v_mad_u64_u32 v[0:1], s[0:1], s14, v118, 0
	v_mad_u64_u32 v[2:3], s[0:1], s12, v132, 0
	;; [unrolled: 1-line block ×3, first 2 shown]
	s_load_dwordx2 s[14:15], s[4:5], 0x0
	v_mad_u64_u32 v[5:6], s[0:1], s13, v132, v[3:4]
	v_mov_b32_e32 v1, v4
	v_lshlrev_b64 v[0:1], 3, v[0:1]
	v_mov_b32_e32 v6, s11
	v_mov_b32_e32 v3, v5
	v_add_co_u32_e32 v4, vcc, s10, v0
	v_addc_co_u32_e32 v5, vcc, v6, v1, vcc
	v_lshlrev_b64 v[0:1], 3, v[2:3]
	s_waitcnt lgkmcnt(0)
	v_mov_b32_e32 v2, s15
	v_add_co_u32_e32 v0, vcc, v4, v0
	v_addc_co_u32_e32 v1, vcc, v5, v1, vcc
	v_add_co_u32_e32 v102, vcc, s14, v131
	v_addc_co_u32_e64 v103, s[0:1], 0, v2, vcc
	s_mul_i32 s0, s13, 0x4b
	s_mul_hi_u32 s1, s12, 0x4b
	s_add_i32 s1, s1, s0
	s_mul_i32 s0, s12, 0x4b
	s_lshl_b64 s[16:17], s[0:1], 3
	v_mov_b32_e32 v24, s17
	v_add_co_u32_e64 v2, s[0:1], s16, v0
	v_addc_co_u32_e64 v3, s[0:1], v1, v24, s[0:1]
	v_add_co_u32_e64 v4, s[0:1], s16, v2
	v_addc_co_u32_e64 v5, s[0:1], v3, v24, s[0:1]
	;; [unrolled: 2-line block ×3, first 2 shown]
	global_load_dwordx2 v[8:9], v[0:1], off
	global_load_dwordx2 v[10:11], v[2:3], off
	;; [unrolled: 1-line block ×4, first 2 shown]
	global_load_dwordx2 v[125:126], v131, s[14:15]
	global_load_dwordx2 v[123:124], v131, s[14:15] offset:600
	global_load_dwordx2 v[121:122], v131, s[14:15] offset:1200
	;; [unrolled: 1-line block ×3, first 2 shown]
	v_add_co_u32_e64 v0, s[0:1], s16, v6
	v_addc_co_u32_e64 v1, s[0:1], v7, v24, s[0:1]
	global_load_dwordx2 v[4:5], v[0:1], off
	v_add_co_u32_e64 v0, s[0:1], s16, v0
	v_addc_co_u32_e64 v1, s[0:1], v1, v24, s[0:1]
	global_load_dwordx2 v[6:7], v[0:1], off
	v_add_co_u32_e64 v0, s[0:1], s16, v0
	v_addc_co_u32_e64 v1, s[0:1], v1, v24, s[0:1]
	v_add_co_u32_e64 v2, s[0:1], s16, v0
	v_addc_co_u32_e64 v3, s[0:1], v1, v24, s[0:1]
	s_movk_i32 s0, 0x1000
	global_load_dwordx2 v[16:17], v[0:1], off
	global_load_dwordx2 v[119:120], v131, s[14:15] offset:2400
	global_load_dwordx2 v[114:115], v131, s[14:15] offset:3000
	;; [unrolled: 1-line block ×3, first 2 shown]
	v_add_co_u32_e64 v0, s[0:1], s0, v102
	v_addc_co_u32_e64 v1, s[0:1], 0, v103, s[0:1]
	global_load_dwordx2 v[18:19], v[2:3], off
	v_add_co_u32_e64 v2, s[0:1], s16, v2
	v_addc_co_u32_e64 v3, s[0:1], v3, v24, s[0:1]
	global_load_dwordx2 v[110:111], v[0:1], off offset:104
	global_load_dwordx2 v[20:21], v[2:3], off
	global_load_dwordx2 v[108:109], v[0:1], off offset:704
	v_add_co_u32_e64 v2, s[0:1], s16, v2
	v_addc_co_u32_e64 v3, s[0:1], v3, v24, s[0:1]
	global_load_dwordx2 v[22:23], v[2:3], off
	global_load_dwordx2 v[106:107], v[0:1], off offset:1304
	v_add_co_u32_e64 v2, s[0:1], s16, v2
	v_addc_co_u32_e64 v3, s[0:1], v3, v24, s[0:1]
	global_load_dwordx2 v[24:25], v[2:3], off
	global_load_dwordx2 v[104:105], v[0:1], off offset:1904
	s_load_dwordx2 s[6:7], s[4:5], 0x38
	s_load_dwordx4 s[8:11], s[2:3], 0x0
	v_cmp_gt_u16_e64 s[0:1], 20, v132
	s_waitcnt vmcnt(17)
	v_mul_f32_e32 v26, v9, v126
	v_fmac_f32_e32 v26, v8, v125
	v_mul_f32_e32 v8, v8, v126
	v_fma_f32 v27, v9, v125, -v8
	s_waitcnt vmcnt(16)
	v_mul_f32_e32 v8, v11, v124
	v_mul_f32_e32 v9, v10, v124
	v_fmac_f32_e32 v8, v10, v123
	v_fma_f32 v9, v11, v123, -v9
	ds_write2_b64 v131, v[26:27], v[8:9] offset1:75
	s_waitcnt vmcnt(15)
	v_mul_f32_e32 v8, v13, v122
	v_mul_f32_e32 v9, v12, v122
	s_waitcnt vmcnt(14)
	v_mul_f32_e32 v10, v15, v117
	v_mul_f32_e32 v11, v14, v117
	v_fmac_f32_e32 v8, v12, v121
	v_fma_f32 v9, v13, v121, -v9
	v_fmac_f32_e32 v10, v14, v116
	v_fma_f32 v11, v15, v116, -v11
	ds_write2_b64 v131, v[8:9], v[10:11] offset0:150 offset1:225
	v_add_u32_e32 v12, 0x1000, v131
	s_waitcnt vmcnt(10)
	v_mul_f32_e32 v8, v5, v120
	v_fmac_f32_e32 v8, v4, v119
	v_mul_f32_e32 v4, v4, v120
	v_fma_f32 v9, v5, v119, -v4
	s_waitcnt vmcnt(9)
	v_mul_f32_e32 v5, v7, v115
	v_mul_f32_e32 v4, v6, v115
	v_fmac_f32_e32 v5, v6, v114
	v_fma_f32 v6, v7, v114, -v4
	v_add_u32_e32 v4, 0x800, v131
	ds_write2_b64 v4, v[8:9], v[5:6] offset0:44 offset1:119
	s_waitcnt vmcnt(8)
	v_mul_f32_e32 v5, v16, v113
	v_mul_f32_e32 v6, v17, v113
	v_fma_f32 v7, v17, v112, -v5
	s_waitcnt vmcnt(6)
	v_mul_f32_e32 v8, v19, v111
	v_mul_f32_e32 v5, v18, v111
	v_fmac_f32_e32 v6, v16, v112
	v_fmac_f32_e32 v8, v18, v110
	v_fma_f32 v9, v19, v110, -v5
	v_add_u32_e32 v5, 0xc00, v131
	ds_write2_b64 v5, v[6:7], v[8:9] offset0:66 offset1:141
	s_waitcnt vmcnt(4)
	v_mul_f32_e32 v6, v21, v109
	v_mul_f32_e32 v7, v20, v109
	s_waitcnt vmcnt(2)
	v_mul_f32_e32 v8, v23, v107
	v_mul_f32_e32 v9, v22, v107
	v_fmac_f32_e32 v6, v20, v108
	v_fma_f32 v7, v21, v108, -v7
	v_fmac_f32_e32 v8, v22, v106
	v_fma_f32 v9, v23, v106, -v9
	ds_write2_b64 v12, v[6:7], v[8:9] offset0:88 offset1:163
	s_waitcnt vmcnt(0)
	v_mul_f32_e32 v6, v25, v105
	v_mul_f32_e32 v7, v24, v105
	v_fmac_f32_e32 v6, v24, v104
	v_fma_f32 v7, v25, v104, -v7
	ds_write_b64 v131, v[6:7] offset:6000
	s_and_saveexec_b64 s[18:19], s[0:1]
	s_cbranch_execz .LBB0_3
; %bb.2:
	v_mov_b32_e32 v6, 0xffffea48
	v_mad_u64_u32 v[2:3], s[2:3], s12, v6, v[2:3]
	s_mul_i32 s2, s13, 0xffffea48
	s_sub_i32 s2, s2, s12
	v_add_u32_e32 v3, s2, v3
	global_load_dwordx2 v[6:7], v[2:3], off
	v_mov_b32_e32 v47, s17
	v_add_co_u32_e64 v2, s[2:3], s16, v2
	v_addc_co_u32_e64 v3, s[2:3], v3, v47, s[2:3]
	global_load_dwordx2 v[8:9], v[2:3], off
	v_add_co_u32_e64 v2, s[2:3], s16, v2
	v_addc_co_u32_e64 v3, s[2:3], v3, v47, s[2:3]
	global_load_dwordx2 v[10:11], v[2:3], off
	;; [unrolled: 3-line block ×3, first 2 shown]
	global_load_dwordx2 v[15:16], v[102:103], off offset:440
	global_load_dwordx2 v[17:18], v[102:103], off offset:1040
	;; [unrolled: 1-line block ×4, first 2 shown]
	v_add_co_u32_e64 v2, s[2:3], s16, v2
	v_addc_co_u32_e64 v3, s[2:3], v3, v47, s[2:3]
	global_load_dwordx2 v[23:24], v[2:3], off
	v_add_co_u32_e64 v2, s[2:3], s16, v2
	v_addc_co_u32_e64 v3, s[2:3], v3, v47, s[2:3]
	global_load_dwordx2 v[25:26], v[2:3], off
	global_load_dwordx2 v[27:28], v[102:103], off offset:2840
	global_load_dwordx2 v[29:30], v[102:103], off offset:3440
	v_add_co_u32_e64 v2, s[2:3], s16, v2
	v_addc_co_u32_e64 v3, s[2:3], v3, v47, s[2:3]
	global_load_dwordx2 v[31:32], v[2:3], off
	v_add_co_u32_e64 v2, s[2:3], s16, v2
	v_addc_co_u32_e64 v3, s[2:3], v3, v47, s[2:3]
	global_load_dwordx2 v[33:34], v[2:3], off
	global_load_dwordx2 v[35:36], v[102:103], off offset:4040
	global_load_dwordx2 v[37:38], v[0:1], off offset:544
	v_add_co_u32_e64 v2, s[2:3], s16, v2
	v_addc_co_u32_e64 v3, s[2:3], v3, v47, s[2:3]
	global_load_dwordx2 v[39:40], v[2:3], off
	global_load_dwordx2 v[41:42], v[0:1], off offset:1144
	v_add_co_u32_e64 v2, s[2:3], s16, v2
	v_addc_co_u32_e64 v3, s[2:3], v3, v47, s[2:3]
	global_load_dwordx2 v[43:44], v[2:3], off
	global_load_dwordx2 v[45:46], v[0:1], off offset:1744
	v_add_co_u32_e64 v2, s[2:3], s16, v2
	v_addc_co_u32_e64 v3, s[2:3], v3, v47, s[2:3]
	global_load_dwordx2 v[47:48], v[0:1], off offset:2344
	global_load_dwordx2 v[49:50], v[2:3], off
	v_add_u32_e32 v51, 0x400, v131
	s_waitcnt vmcnt(17)
	v_mul_f32_e32 v0, v7, v16
	v_mul_f32_e32 v1, v6, v16
	s_waitcnt vmcnt(16)
	v_mul_f32_e32 v2, v9, v18
	v_mul_f32_e32 v3, v8, v18
	v_fmac_f32_e32 v0, v6, v15
	v_fma_f32 v1, v7, v15, -v1
	v_fmac_f32_e32 v2, v8, v17
	v_fma_f32 v3, v9, v17, -v3
	s_waitcnt vmcnt(15)
	v_mul_f32_e32 v6, v11, v20
	v_mul_f32_e32 v7, v10, v20
	ds_write2_b64 v131, v[0:1], v[2:3] offset0:55 offset1:130
	s_waitcnt vmcnt(14)
	v_mul_f32_e32 v0, v14, v22
	v_mul_f32_e32 v1, v13, v22
	v_fmac_f32_e32 v6, v10, v19
	v_fma_f32 v7, v11, v19, -v7
	v_fmac_f32_e32 v0, v13, v21
	v_fma_f32 v1, v14, v21, -v1
	s_waitcnt vmcnt(11)
	v_mul_f32_e32 v2, v24, v28
	v_mul_f32_e32 v3, v23, v28
	ds_write2_b64 v51, v[6:7], v[0:1] offset0:77 offset1:152
	s_waitcnt vmcnt(10)
	v_mul_f32_e32 v0, v26, v30
	v_mul_f32_e32 v1, v25, v30
	v_fmac_f32_e32 v2, v23, v27
	v_fma_f32 v3, v24, v27, -v3
	v_fmac_f32_e32 v0, v25, v29
	v_fma_f32 v1, v26, v29, -v1
	ds_write2_b64 v4, v[2:3], v[0:1] offset0:99 offset1:174
	s_waitcnt vmcnt(7)
	v_mul_f32_e32 v0, v32, v36
	v_mul_f32_e32 v1, v31, v36
	s_waitcnt vmcnt(6)
	v_mul_f32_e32 v2, v34, v38
	v_mul_f32_e32 v3, v33, v38
	v_fmac_f32_e32 v0, v31, v35
	v_fma_f32 v1, v32, v35, -v1
	v_fmac_f32_e32 v2, v33, v37
	v_fma_f32 v3, v34, v37, -v3
	ds_write2_b64 v5, v[0:1], v[2:3] offset0:121 offset1:196
	s_waitcnt vmcnt(4)
	v_mul_f32_e32 v0, v40, v42
	v_mul_f32_e32 v1, v39, v42
	;; [unrolled: 11-line block ×3, first 2 shown]
	v_fmac_f32_e32 v0, v49, v47
	v_fma_f32 v1, v50, v47, -v1
	ds_write_b64 v131, v[0:1] offset:6440
.LBB0_3:
	s_or_b64 exec, exec, s[18:19]
	s_waitcnt lgkmcnt(0)
	; wave barrier
	s_waitcnt lgkmcnt(0)
	ds_read2_b64 v[36:39], v131 offset1:75
	ds_read2_b64 v[8:11], v131 offset0:150 offset1:225
	ds_read2_b64 v[0:3], v4 offset0:44 offset1:119
	;; [unrolled: 1-line block ×4, first 2 shown]
	ds_read_b64 v[44:45], v131 offset:6000
	s_load_dwordx2 s[4:5], s[4:5], 0x8
	v_mov_b32_e32 v12, 0
	v_mov_b32_e32 v13, 0
                                        ; implicit-def: $vgpr16
                                        ; implicit-def: $vgpr28
                                        ; implicit-def: $vgpr40
                                        ; implicit-def: $vgpr26
                                        ; implicit-def: $vgpr22
	s_and_saveexec_b64 s[2:3], s[0:1]
	s_cbranch_execz .LBB0_5
; %bb.4:
	v_add_u32_e32 v16, 0x400, v131
	ds_read2_b64 v[20:23], v16 offset0:77 offset1:152
	v_add_u32_e32 v16, 0x800, v131
	ds_read2_b64 v[24:27], v16 offset0:99 offset1:174
	v_add_u32_e32 v16, 0xc00, v131
	v_add_u32_e32 v28, 0x1000, v131
	ds_read2_b64 v[12:15], v131 offset0:55 offset1:130
	ds_read2_b64 v[16:19], v16 offset0:121 offset1:196
	ds_read2_b64 v[28:31], v28 offset0:143 offset1:218
	ds_read_b64 v[40:41], v131 offset:6440
.LBB0_5:
	s_or_b64 exec, exec, s[2:3]
	s_waitcnt lgkmcnt(0)
	v_add_f32_e32 v42, v36, v38
	v_add_f32_e32 v43, v37, v39
	;; [unrolled: 1-line block ×19, first 2 shown]
	v_sub_f32_e32 v38, v38, v44
	v_sub_f32_e32 v39, v39, v45
	v_add_f32_e32 v43, v43, v35
	v_add_f32_e32 v42, v42, v44
	v_mul_f32_e32 v44, 0xbf0a6770, v39
	s_mov_b32 s2, 0x3f575c64
	v_mul_f32_e32 v48, 0xbf0a6770, v38
	v_mul_f32_e32 v50, 0xbf68dda4, v39
	s_mov_b32 s3, 0x3ed4b147
	v_mul_f32_e32 v52, 0xbf68dda4, v38
	;; [unrolled: 3-line block ×5, first 2 shown]
	v_add_f32_e32 v43, v43, v45
	v_fma_f32 v45, v46, s2, -v44
	v_mov_b32_e32 v49, v48
	v_fmac_f32_e32 v44, 0x3f575c64, v46
	v_fma_f32 v51, v46, s3, -v50
	v_mov_b32_e32 v53, v52
	v_fmac_f32_e32 v50, 0x3ed4b147, v46
	;; [unrolled: 3-line block ×5, first 2 shown]
	v_add_f32_e32 v45, v36, v45
	v_fmac_f32_e32 v49, 0x3f575c64, v47
	v_add_f32_e32 v44, v36, v44
	v_fma_f32 v48, v47, s2, -v48
	v_add_f32_e32 v51, v36, v51
	v_fmac_f32_e32 v53, 0x3ed4b147, v47
	v_add_f32_e32 v50, v36, v50
	v_fma_f32 v52, v47, s3, -v52
	;; [unrolled: 4-line block ×5, first 2 shown]
	v_add_f32_e32 v39, v35, v9
	v_sub_f32_e32 v9, v9, v35
	v_add_f32_e32 v49, v37, v49
	v_add_f32_e32 v48, v37, v48
	;; [unrolled: 1-line block ×11, first 2 shown]
	v_sub_f32_e32 v8, v8, v34
	v_mul_f32_e32 v34, 0xbf68dda4, v9
	v_fma_f32 v35, v38, s3, -v34
	v_add_f32_e32 v35, v35, v45
	v_mul_f32_e32 v45, 0xbf68dda4, v8
	v_fmac_f32_e32 v34, 0x3ed4b147, v38
	v_mov_b32_e32 v46, v45
	v_add_f32_e32 v34, v34, v44
	v_fma_f32 v44, v39, s3, -v45
	v_mul_f32_e32 v45, 0xbf4178ce, v9
	v_fmac_f32_e32 v46, 0x3ed4b147, v39
	v_add_f32_e32 v44, v44, v48
	v_fma_f32 v47, v38, s13, -v45
	v_mul_f32_e32 v48, 0xbf4178ce, v8
	v_fmac_f32_e32 v45, 0xbf27a4f4, v38
	v_add_f32_e32 v46, v46, v49
	v_mov_b32_e32 v49, v48
	v_add_f32_e32 v45, v45, v50
	v_fma_f32 v48, v39, s13, -v48
	v_mul_f32_e32 v50, 0x3e903f40, v9
	v_add_f32_e32 v47, v47, v51
	v_fmac_f32_e32 v49, 0xbf27a4f4, v39
	v_add_f32_e32 v48, v48, v52
	v_fma_f32 v51, v38, s14, -v50
	v_mul_f32_e32 v52, 0x3e903f40, v8
	v_fmac_f32_e32 v50, 0xbf75a155, v38
	v_add_f32_e32 v49, v49, v53
	v_mov_b32_e32 v53, v52
	v_add_f32_e32 v50, v50, v54
	v_fma_f32 v52, v39, s14, -v52
	v_mul_f32_e32 v54, 0x3f7d64f0, v9
	v_add_f32_e32 v51, v51, v55
	v_add_f32_e32 v52, v52, v56
	v_fma_f32 v55, v38, s12, -v54
	v_mul_f32_e32 v56, 0x3f7d64f0, v8
	v_mul_f32_e32 v8, 0x3f0a6770, v8
	v_add_f32_e32 v55, v55, v59
	v_fmac_f32_e32 v54, 0xbe11bafb, v38
	v_mul_f32_e32 v9, 0x3f0a6770, v9
	v_mov_b32_e32 v59, v8
	v_fma_f32 v8, v39, s2, -v8
	v_add_f32_e32 v54, v54, v58
	v_fma_f32 v58, v38, s2, -v9
	v_fmac_f32_e32 v9, 0x3f575c64, v38
	v_add_f32_e32 v8, v8, v37
	v_add_f32_e32 v37, v33, v11
	v_sub_f32_e32 v11, v11, v33
	v_add_f32_e32 v9, v9, v36
	v_add_f32_e32 v36, v32, v10
	v_sub_f32_e32 v10, v10, v32
	v_mul_f32_e32 v32, 0xbf7d64f0, v11
	v_fma_f32 v33, v36, s12, -v32
	v_fmac_f32_e32 v53, 0xbf75a155, v39
	v_add_f32_e32 v33, v33, v35
	v_mul_f32_e32 v35, 0xbf7d64f0, v10
	v_fmac_f32_e32 v32, 0xbe11bafb, v36
	v_add_f32_e32 v53, v53, v57
	v_mov_b32_e32 v57, v56
	v_mov_b32_e32 v38, v35
	v_add_f32_e32 v32, v32, v34
	v_fma_f32 v34, v37, s12, -v35
	v_mul_f32_e32 v35, 0x3e903f40, v11
	v_fmac_f32_e32 v57, 0xbe11bafb, v39
	v_fma_f32 v56, v39, s12, -v56
	v_fmac_f32_e32 v59, 0x3f575c64, v39
	v_fma_f32 v39, v36, s14, -v35
	v_fmac_f32_e32 v35, 0xbf75a155, v36
	v_fmac_f32_e32 v38, 0xbe11bafb, v37
	v_add_f32_e32 v34, v34, v44
	v_mul_f32_e32 v44, 0x3e903f40, v10
	v_add_f32_e32 v35, v35, v45
	v_mul_f32_e32 v45, 0x3f68dda4, v11
	v_add_f32_e32 v38, v38, v46
	v_add_f32_e32 v39, v39, v47
	v_mov_b32_e32 v46, v44
	v_fma_f32 v44, v37, s14, -v44
	v_fma_f32 v47, v36, s3, -v45
	v_fmac_f32_e32 v45, 0x3ed4b147, v36
	v_fmac_f32_e32 v46, 0xbf75a155, v37
	v_add_f32_e32 v44, v44, v48
	v_mul_f32_e32 v48, 0x3f68dda4, v10
	v_add_f32_e32 v45, v45, v50
	v_mul_f32_e32 v50, 0xbf0a6770, v11
	v_add_f32_e32 v46, v46, v49
	v_add_f32_e32 v47, v47, v51
	v_mov_b32_e32 v49, v48
	v_fma_f32 v48, v37, s3, -v48
	v_fma_f32 v51, v36, s2, -v50
	v_fmac_f32_e32 v50, 0x3f575c64, v36
	v_mul_f32_e32 v11, 0xbf4178ce, v11
	v_add_f32_e32 v48, v48, v52
	v_mul_f32_e32 v52, 0xbf0a6770, v10
	v_add_f32_e32 v50, v50, v54
	v_fma_f32 v54, v36, s13, -v11
	v_mul_f32_e32 v10, 0xbf4178ce, v10
	v_fmac_f32_e32 v11, 0xbf27a4f4, v36
	v_add_f32_e32 v51, v51, v55
	v_mov_b32_e32 v55, v10
	v_add_f32_e32 v9, v11, v9
	v_fma_f32 v10, v37, s13, -v10
	v_add_f32_e32 v11, v7, v1
	v_sub_f32_e32 v1, v1, v7
	v_add_f32_e32 v8, v10, v8
	v_add_f32_e32 v10, v6, v0
	v_sub_f32_e32 v0, v0, v6
	v_mul_f32_e32 v6, 0xbf4178ce, v1
	v_fma_f32 v7, v10, s13, -v6
	v_fmac_f32_e32 v49, 0x3ed4b147, v37
	v_add_f32_e32 v7, v7, v33
	v_mul_f32_e32 v33, 0xbf4178ce, v0
	v_fmac_f32_e32 v6, 0xbf27a4f4, v10
	v_add_f32_e32 v49, v49, v53
	v_mov_b32_e32 v53, v52
	v_mov_b32_e32 v36, v33
	v_add_f32_e32 v6, v6, v32
	v_fma_f32 v32, v11, s13, -v33
	v_mul_f32_e32 v33, 0x3f7d64f0, v1
	v_fmac_f32_e32 v53, 0x3f575c64, v37
	v_fma_f32 v52, v37, s2, -v52
	v_fmac_f32_e32 v55, 0xbf27a4f4, v37
	v_fmac_f32_e32 v36, 0xbf27a4f4, v11
	v_add_f32_e32 v32, v32, v34
	v_fma_f32 v34, v10, s12, -v33
	v_mul_f32_e32 v37, 0x3f7d64f0, v0
	v_fmac_f32_e32 v33, 0xbe11bafb, v10
	v_add_f32_e32 v36, v36, v38
	v_mov_b32_e32 v38, v37
	v_add_f32_e32 v33, v33, v35
	v_fma_f32 v35, v11, s12, -v37
	v_mul_f32_e32 v37, 0xbf0a6770, v1
	v_add_f32_e32 v34, v34, v39
	v_fmac_f32_e32 v38, 0xbe11bafb, v11
	v_add_f32_e32 v35, v35, v44
	v_fma_f32 v39, v10, s2, -v37
	v_mul_f32_e32 v44, 0xbf0a6770, v0
	v_fmac_f32_e32 v37, 0x3f575c64, v10
	v_add_f32_e32 v38, v38, v46
	v_mov_b32_e32 v46, v44
	v_add_f32_e32 v37, v37, v45
	v_fma_f32 v44, v11, s2, -v44
	v_mul_f32_e32 v45, 0xbe903f40, v1
	v_add_f32_e32 v57, v57, v61
	v_add_f32_e32 v58, v58, v62
	;; [unrolled: 1-line block ×3, first 2 shown]
	v_fmac_f32_e32 v46, 0x3f575c64, v11
	v_add_f32_e32 v44, v44, v48
	v_fma_f32 v47, v10, s14, -v45
	v_mul_f32_e32 v48, 0xbe903f40, v0
	v_fmac_f32_e32 v45, 0xbf75a155, v10
	v_mul_f32_e32 v1, 0x3f68dda4, v1
	v_mul_f32_e32 v0, 0x3f68dda4, v0
	v_add_f32_e32 v56, v56, v60
	v_add_f32_e32 v59, v59, v63
	;; [unrolled: 1-line block ×6, first 2 shown]
	v_mov_b32_e32 v49, v48
	v_add_f32_e32 v45, v45, v50
	v_fma_f32 v50, v10, s3, -v1
	v_mov_b32_e32 v51, v0
	v_sub_f32_e32 v57, v3, v5
	v_add_f32_e32 v52, v52, v56
	v_add_f32_e32 v55, v55, v59
	v_fmac_f32_e32 v49, 0xbf75a155, v11
	v_add_f32_e32 v50, v50, v54
	v_fmac_f32_e32 v51, 0x3ed4b147, v11
	v_fma_f32 v0, v11, s3, -v0
	v_add_f32_e32 v54, v4, v2
	v_sub_f32_e32 v56, v2, v4
	v_mul_f32_e32 v2, 0xbe903f40, v57
	v_add_f32_e32 v49, v49, v53
	v_add_f32_e32 v51, v51, v55
	;; [unrolled: 1-line block ×4, first 2 shown]
	v_fma_f32 v0, v54, s14, -v2
	v_mul_f32_e32 v3, 0xbe903f40, v56
	v_fmac_f32_e32 v2, 0xbf75a155, v54
	v_add_f32_e32 v75, v2, v6
	v_fma_f32 v2, v55, s14, -v3
	v_mul_f32_e32 v4, 0x3f0a6770, v57
	v_add_f32_e32 v76, v2, v32
	v_fma_f32 v2, v54, s2, -v4
	v_fmac_f32_e32 v4, 0x3f575c64, v54
	v_mul_f32_e32 v32, 0x3f68dda4, v57
	v_fma_f32 v48, v11, s14, -v48
	v_fmac_f32_e32 v1, 0x3ed4b147, v10
	v_add_f32_e32 v4, v4, v33
	v_fma_f32 v10, v54, s3, -v32
	v_mul_f32_e32 v33, 0x3f68dda4, v56
	v_fmac_f32_e32 v32, 0x3ed4b147, v54
	v_add_f32_e32 v48, v48, v52
	v_add_f32_e32 v65, v32, v45
	v_fma_f32 v32, v55, s3, -v33
	v_add_f32_e32 v66, v32, v48
	v_mul_f32_e32 v32, 0xbf7d64f0, v57
	v_mov_b32_e32 v11, v33
	v_fma_f32 v33, v54, s12, -v32
	v_add_f32_e32 v52, v1, v9
	v_add_f32_e32 v68, v33, v50
	v_mul_f32_e32 v33, 0xbf7d64f0, v56
	v_fmac_f32_e32 v32, 0xbe11bafb, v54
	v_add_f32_e32 v2, v2, v34
	v_mul_f32_e32 v8, 0xbf4178ce, v57
	v_mov_b32_e32 v34, v33
	v_add_f32_e32 v70, v32, v52
	v_fma_f32 v32, v55, s12, -v33
	v_sub_f32_e32 v77, v15, v41
	v_fma_f32 v6, v54, s13, -v8
	v_mul_f32_e32 v9, 0xbf4178ce, v56
	v_fmac_f32_e32 v34, 0xbe11bafb, v55
	v_add_f32_e32 v71, v32, v53
	v_mul_f32_e32 v32, 0xbf0a6770, v77
	v_add_f32_e32 v0, v0, v7
	v_mul_f32_e32 v5, 0x3f0a6770, v56
	v_add_f32_e32 v6, v6, v39
	v_mov_b32_e32 v7, v9
	v_fma_f32 v9, v55, s13, -v9
	v_add_f32_e32 v69, v34, v51
	v_add_f32_e32 v39, v40, v14
	v_sub_f32_e32 v56, v14, v40
	v_mov_b32_e32 v34, v32
	v_add_f32_e32 v9, v9, v44
	v_add_f32_e32 v44, v41, v15
	v_mul_f32_e32 v33, 0xbf0a6770, v56
	v_fmac_f32_e32 v34, 0x3f575c64, v39
	v_mov_b32_e32 v1, v3
	v_fmac_f32_e32 v7, 0xbf27a4f4, v55
	v_add_f32_e32 v45, v34, v12
	v_fma_f32 v34, v44, s2, -v33
	v_fmac_f32_e32 v1, 0xbf75a155, v55
	v_add_f32_e32 v7, v7, v46
	v_add_f32_e32 v46, v34, v13
	v_mul_f32_e32 v34, 0xbf68dda4, v77
	v_add_f32_e32 v1, v1, v36
	v_mov_b32_e32 v3, v5
	v_fma_f32 v5, v55, s2, -v5
	v_mov_b32_e32 v36, v34
	v_add_f32_e32 v5, v5, v35
	v_fmac_f32_e32 v8, 0xbf27a4f4, v54
	v_mul_f32_e32 v35, 0xbf68dda4, v56
	v_fmac_f32_e32 v36, 0x3ed4b147, v39
	v_add_f32_e32 v8, v8, v37
	v_add_f32_e32 v10, v10, v47
	v_add_f32_e32 v47, v36, v12
	v_fma_f32 v36, v44, s3, -v35
	v_mul_f32_e32 v37, 0xbf7d64f0, v77
	v_add_f32_e32 v48, v36, v13
	v_mov_b32_e32 v36, v37
	v_fmac_f32_e32 v11, 0x3ed4b147, v55
	v_fmac_f32_e32 v36, 0xbe11bafb, v39
	v_sub_f32_e32 v79, v21, v31
	v_add_f32_e32 v11, v11, v49
	v_add_f32_e32 v49, v36, v12
	v_mul_f32_e32 v36, 0xbf68dda4, v79
	v_fmac_f32_e32 v3, 0x3f575c64, v55
	v_add_f32_e32 v50, v30, v20
	v_sub_f32_e32 v78, v20, v30
	v_mov_b32_e32 v52, v36
	v_add_f32_e32 v3, v3, v38
	v_add_f32_e32 v51, v31, v21
	v_mul_f32_e32 v38, 0xbf68dda4, v78
	v_fmac_f32_e32 v52, 0x3ed4b147, v50
	v_add_f32_e32 v52, v52, v45
	v_fma_f32 v45, v51, s3, -v38
	v_add_f32_e32 v53, v45, v46
	v_mul_f32_e32 v45, 0xbf4178ce, v79
	v_mov_b32_e32 v54, v45
	v_mul_f32_e32 v46, 0xbf4178ce, v78
	v_fmac_f32_e32 v54, 0xbf27a4f4, v50
	v_add_f32_e32 v54, v54, v47
	v_fma_f32 v47, v51, s13, -v46
	v_add_f32_e32 v58, v47, v48
	v_mul_f32_e32 v48, 0x3e903f40, v79
	v_mov_b32_e32 v47, v48
	v_fmac_f32_e32 v47, 0xbf75a155, v50
	v_sub_f32_e32 v81, v23, v29
	v_add_f32_e32 v59, v47, v49
	v_mul_f32_e32 v47, 0xbf7d64f0, v81
	v_add_f32_e32 v55, v28, v22
	v_sub_f32_e32 v80, v22, v28
	v_mov_b32_e32 v60, v47
	v_add_f32_e32 v57, v29, v23
	v_mul_f32_e32 v49, 0xbf7d64f0, v80
	v_fmac_f32_e32 v60, 0xbe11bafb, v55
	v_add_f32_e32 v60, v60, v52
	v_fma_f32 v52, v57, s12, -v49
	v_add_f32_e32 v61, v52, v53
	v_mul_f32_e32 v52, 0x3e903f40, v81
	v_mov_b32_e32 v62, v52
	v_mul_f32_e32 v53, 0x3e903f40, v80
	v_fmac_f32_e32 v62, 0xbf75a155, v55
	v_add_f32_e32 v63, v62, v54
	v_fma_f32 v54, v57, s14, -v53
	v_add_f32_e32 v64, v54, v58
	v_mul_f32_e32 v54, 0x3f68dda4, v81
	v_mul_lo_u16_e32 v62, 11, v132
	v_mov_b32_e32 v58, v54
	v_lshlrev_b32_e32 v134, 3, v62
	v_sub_f32_e32 v83, v25, v19
	v_fmac_f32_e32 v58, 0x3ed4b147, v55
	s_waitcnt lgkmcnt(0)
	; wave barrier
	ds_write2_b64 v134, v[42:43], v[0:1] offset1:1
	v_mul_f32_e32 v42, 0xbf4178ce, v83
	v_add_f32_e32 v67, v58, v59
	v_add_f32_e32 v58, v18, v24
	v_sub_f32_e32 v82, v24, v18
	v_mov_b32_e32 v0, v42
	v_add_f32_e32 v59, v19, v25
	v_fmac_f32_e32 v0, 0xbf27a4f4, v58
	v_mul_f32_e32 v43, 0xbf4178ce, v82
	v_add_f32_e32 v0, v0, v60
	v_fma_f32 v1, v59, s13, -v43
	v_mul_f32_e32 v60, 0x3f7d64f0, v83
	v_mul_f32_e32 v62, 0x3f7d64f0, v82
	v_sub_f32_e32 v84, v27, v17
	v_add_f32_e32 v1, v1, v61
	ds_write2_b64 v134, v[2:3], v[6:7] offset0:2 offset1:3
	v_mov_b32_e32 v2, v60
	v_fma_f32 v3, v59, s12, -v62
	v_mul_f32_e32 v61, 0xbe903f40, v84
	v_fmac_f32_e32 v2, 0xbe11bafb, v58
	v_add_f32_e32 v3, v3, v64
	v_mul_f32_e32 v64, 0xbf0a6770, v83
	ds_write2_b64 v134, v[10:11], v[68:69] offset0:4 offset1:5
	v_add_f32_e32 v68, v16, v26
	v_sub_f32_e32 v7, v26, v16
	v_mov_b32_e32 v10, v61
	v_add_f32_e32 v2, v2, v63
	v_mov_b32_e32 v6, v64
	v_add_f32_e32 v69, v17, v27
	v_mul_f32_e32 v63, 0xbe903f40, v7
	v_fmac_f32_e32 v10, 0xbf75a155, v68
	v_fmac_f32_e32 v6, 0x3f575c64, v58
	ds_write2_b64 v134, v[70:71], v[65:66] offset0:6 offset1:7
	v_add_f32_e32 v127, v10, v0
	v_fma_f32 v0, v69, s14, -v63
	v_mul_f32_e32 v65, 0x3f0a6770, v84
	v_add_f32_e32 v6, v6, v67
	v_mul_f32_e32 v67, 0xbf7d64f0, v56
	v_add_f32_e32 v128, v0, v1
	v_mov_b32_e32 v0, v65
	v_mul_f32_e32 v66, 0x3f0a6770, v7
	v_fmac_f32_e32 v0, 0x3f575c64, v68
	v_fma_f32 v1, v44, s12, -v67
	v_mul_f32_e32 v71, 0x3e903f40, v78
	ds_write2_b64 v134, v[8:9], v[4:5] offset0:8 offset1:9
	v_add_f32_e32 v2, v0, v2
	v_fma_f32 v0, v69, s2, -v66
	v_mul_f32_e32 v70, 0xbf4178ce, v84
	v_add_f32_e32 v1, v1, v13
	v_fma_f32 v4, v51, s14, -v71
	v_mul_f32_e32 v72, 0x3f68dda4, v80
	v_add_f32_e32 v3, v0, v3
	v_mov_b32_e32 v0, v70
	v_add_f32_e32 v1, v4, v1
	v_fma_f32 v4, v57, s3, -v72
	v_mul_f32_e32 v73, 0xbf0a6770, v82
	v_fmac_f32_e32 v0, 0xbf27a4f4, v68
	v_add_f32_e32 v1, v4, v1
	v_fma_f32 v4, v59, s2, -v73
	v_mul_f32_e32 v74, 0xbf4178ce, v7
	v_add_f32_e32 v0, v0, v6
	v_add_f32_e32 v1, v4, v1
	v_fma_f32 v4, v69, s13, -v74
	v_mul_f32_e32 v6, 0xbf4178ce, v77
	v_add_f32_e32 v1, v4, v1
	v_fma_f32 v4, v39, s13, -v6
	v_mul_f32_e32 v8, 0x3f7d64f0, v79
	;; [unrolled: 3-line block ×3, first 2 shown]
	v_add_f32_e32 v4, v5, v4
	v_mov_b32_e32 v5, v9
	v_mul_f32_e32 v10, 0x3f7d64f0, v78
	v_fmac_f32_e32 v5, 0xbf27a4f4, v44
	v_mov_b32_e32 v11, v10
	v_add_f32_e32 v5, v5, v13
	v_fmac_f32_e32 v11, 0xbe11bafb, v51
	v_add_f32_e32 v5, v11, v5
	v_mul_f32_e32 v11, 0xbf0a6770, v81
	v_fma_f32 v85, v55, s2, -v11
	v_add_f32_e32 v4, v85, v4
	v_mul_f32_e32 v85, 0xbf0a6770, v80
	v_mov_b32_e32 v86, v85
	v_fmac_f32_e32 v86, 0x3f575c64, v57
	v_add_f32_e32 v5, v86, v5
	v_mul_f32_e32 v86, 0xbe903f40, v83
	v_fmac_f32_e32 v6, 0xbf27a4f4, v39
	v_fma_f32 v87, v58, s14, -v86
	v_add_f32_e32 v6, v6, v12
	v_fmac_f32_e32 v8, 0xbe11bafb, v50
	v_add_f32_e32 v4, v87, v4
	v_mul_f32_e32 v87, 0xbe903f40, v82
	v_add_f32_e32 v6, v8, v6
	v_fma_f32 v8, v44, s13, -v9
	v_mov_b32_e32 v88, v87
	v_add_f32_e32 v8, v8, v13
	v_fma_f32 v9, v51, s12, -v10
	v_fmac_f32_e32 v88, 0xbf75a155, v59
	v_add_f32_e32 v8, v9, v8
	v_fma_f32 v9, v57, s2, -v85
	v_add_f32_e32 v5, v88, v5
	v_mul_f32_e32 v88, 0x3f68dda4, v7
	v_fmac_f32_e32 v11, 0x3f575c64, v55
	v_add_f32_e32 v8, v9, v8
	v_fma_f32 v9, v59, s14, -v87
	v_mul_f32_e32 v90, 0x3f68dda4, v84
	v_add_f32_e32 v6, v11, v6
	v_fmac_f32_e32 v86, 0xbf75a155, v58
	v_add_f32_e32 v8, v9, v8
	v_fma_f32 v9, v69, s3, -v88
	v_fma_f32 v91, v68, s3, -v90
	v_add_f32_e32 v6, v86, v6
	v_fmac_f32_e32 v90, 0x3ed4b147, v68
	v_add_f32_e32 v11, v9, v8
	v_mul_f32_e32 v8, 0xbe903f40, v77
	v_add_f32_e32 v10, v90, v6
	v_fma_f32 v6, v39, s14, -v8
	v_mul_f32_e32 v9, 0x3f0a6770, v79
	v_add_f32_e32 v6, v6, v12
	v_fma_f32 v77, v50, s2, -v9
	v_add_f32_e32 v6, v77, v6
	v_mul_f32_e32 v77, 0xbf4178ce, v81
	v_fma_f32 v79, v55, s13, -v77
	v_add_f32_e32 v6, v79, v6
	v_mul_f32_e32 v79, 0x3f68dda4, v83
	;; [unrolled: 3-line block ×3, first 2 shown]
	v_fma_f32 v83, v68, s12, -v81
	v_mul_f32_e32 v56, 0xbe903f40, v56
	v_add_f32_e32 v6, v83, v6
	v_mov_b32_e32 v83, v56
	v_mul_f32_e32 v78, 0x3f0a6770, v78
	v_fmac_f32_e32 v83, 0xbf75a155, v44
	v_mov_b32_e32 v84, v78
	v_add_f32_e32 v83, v83, v13
	v_fmac_f32_e32 v84, 0x3f575c64, v51
	v_mul_f32_e32 v80, 0xbf4178ce, v80
	v_fmac_f32_e32 v8, 0xbf75a155, v39
	v_add_f32_e32 v83, v84, v83
	v_mov_b32_e32 v84, v80
	v_add_f32_e32 v8, v8, v12
	v_fmac_f32_e32 v9, 0x3f575c64, v50
	v_fmac_f32_e32 v84, 0xbf27a4f4, v57
	v_mul_f32_e32 v82, 0x3f68dda4, v82
	v_add_f32_e32 v8, v9, v8
	v_fma_f32 v9, v44, s14, -v56
	v_add_f32_e32 v83, v84, v83
	v_mov_b32_e32 v84, v82
	v_add_f32_e32 v9, v9, v13
	v_fma_f32 v56, v51, s2, -v78
	v_fmac_f32_e32 v84, 0x3ed4b147, v59
	v_add_f32_e32 v9, v56, v9
	v_fma_f32 v56, v57, s13, -v80
	v_add_f32_e32 v83, v84, v83
	v_mul_f32_e32 v84, 0xbf7d64f0, v7
	v_fmac_f32_e32 v77, 0xbf27a4f4, v55
	v_add_f32_e32 v9, v56, v9
	v_fma_f32 v56, v59, s3, -v82
	v_mov_b32_e32 v89, v88
	v_mov_b32_e32 v7, v84
	v_add_f32_e32 v8, v77, v8
	v_fmac_f32_e32 v79, 0x3ed4b147, v58
	v_add_f32_e32 v9, v56, v9
	v_fma_f32 v56, v69, s12, -v84
	v_fmac_f32_e32 v89, 0x3ed4b147, v69
	v_fmac_f32_e32 v7, 0xbe11bafb, v69
	v_add_f32_e32 v8, v79, v8
	v_fmac_f32_e32 v81, 0xbe11bafb, v68
	v_add_f32_e32 v9, v56, v9
	v_add_co_u32_e64 v56, s[2:3], 55, v132
	v_add_f32_e32 v4, v91, v4
	v_add_f32_e32 v5, v89, v5
	;; [unrolled: 1-line block ×4, first 2 shown]
	v_mul_u32_u24_e32 v133, 11, v56
	ds_write_b64 v134, v[75:76] offset:80
	s_and_saveexec_b64 s[2:3], s[0:1]
	s_cbranch_execz .LBB0_7
; %bb.6:
	v_mul_f32_e32 v75, 0x3f575c64, v39
	v_mul_f32_e32 v77, 0x3ed4b147, v39
	;; [unrolled: 1-line block ×6, first 2 shown]
	v_sub_f32_e32 v37, v39, v37
	v_mul_f32_e32 v83, 0xbe11bafb, v55
	v_mul_f32_e32 v85, 0xbf75a155, v55
	;; [unrolled: 1-line block ×3, first 2 shown]
	v_add_f32_e32 v37, v37, v12
	v_sub_f32_e32 v39, v50, v48
	v_mul_f32_e32 v87, 0xbf27a4f4, v58
	v_mul_f32_e32 v89, 0xbe11bafb, v58
	;; [unrolled: 1-line block ×3, first 2 shown]
	v_add_f32_e32 v37, v39, v37
	v_sub_f32_e32 v39, v55, v54
	v_mul_f32_e32 v78, 0x3ed4b147, v44
	v_mul_f32_e32 v91, 0xbf75a155, v68
	;; [unrolled: 1-line block ×4, first 2 shown]
	v_add_f32_e32 v37, v39, v37
	v_sub_f32_e32 v39, v58, v64
	v_mul_f32_e32 v82, 0xbf27a4f4, v51
	v_add_f32_e32 v37, v39, v37
	v_sub_f32_e32 v39, v68, v70
	v_add_f32_e32 v35, v35, v78
	v_mul_f32_e32 v86, 0xbf75a155, v57
	v_add_f32_e32 v50, v39, v37
	v_add_f32_e32 v35, v35, v13
	;; [unrolled: 1-line block ×3, first 2 shown]
	v_mul_f32_e32 v76, 0x3f575c64, v44
	v_mul_f32_e32 v44, 0xbe11bafb, v44
	v_mul_f32_e32 v90, 0xbe11bafb, v59
	v_add_f32_e32 v35, v37, v35
	v_add_f32_e32 v37, v53, v86
	v_mul_f32_e32 v94, 0x3f575c64, v69
	v_add_f32_e32 v44, v67, v44
	v_add_f32_e32 v35, v37, v35
	;; [unrolled: 1-line block ×3, first 2 shown]
	v_sub_f32_e32 v34, v77, v34
	v_add_f32_e32 v33, v33, v76
	v_sub_f32_e32 v32, v75, v32
	v_add_f32_e32 v44, v44, v13
	v_add_f32_e32 v35, v37, v35
	;; [unrolled: 1-line block ×9, first 2 shown]
	v_sub_f32_e32 v37, v81, v45
	v_add_f32_e32 v13, v21, v13
	v_add_f32_e32 v12, v20, v12
	;; [unrolled: 1-line block ×3, first 2 shown]
	v_sub_f32_e32 v37, v85, v52
	v_add_f32_e32 v13, v23, v13
	v_add_f32_e32 v12, v22, v12
	;; [unrolled: 1-line block ×3, first 2 shown]
	v_sub_f32_e32 v37, v89, v60
	v_add_f32_e32 v13, v25, v13
	v_add_f32_e32 v12, v24, v12
	v_mul_f32_e32 v80, 0x3ed4b147, v51
	v_add_f32_e32 v34, v37, v34
	v_sub_f32_e32 v37, v93, v65
	v_add_f32_e32 v13, v27, v13
	v_add_f32_e32 v12, v26, v12
	v_mul_f32_e32 v51, 0xbf75a155, v51
	v_mul_f32_e32 v84, 0xbe11bafb, v57
	v_add_f32_e32 v34, v37, v34
	v_add_f32_e32 v37, v38, v80
	v_sub_f32_e32 v36, v79, v36
	v_add_f32_e32 v13, v17, v13
	v_add_f32_e32 v12, v16, v12
	v_mul_f32_e32 v57, 0x3ed4b147, v57
	v_mul_f32_e32 v88, 0xbf27a4f4, v59
	v_add_f32_e32 v51, v71, v51
	v_add_f32_e32 v33, v37, v33
	;; [unrolled: 1-line block ×4, first 2 shown]
	v_sub_f32_e32 v36, v83, v47
	v_add_f32_e32 v13, v19, v13
	v_add_f32_e32 v12, v18, v12
	v_mul_f32_e32 v59, 0x3f575c64, v59
	v_mul_f32_e32 v92, 0xbf75a155, v69
	v_add_f32_e32 v44, v51, v44
	v_add_f32_e32 v51, v72, v57
	;; [unrolled: 1-line block ×5, first 2 shown]
	v_sub_f32_e32 v36, v87, v42
	v_add_f32_e32 v13, v29, v13
	v_add_f32_e32 v12, v28, v12
	v_mul_f32_e32 v69, 0xbf27a4f4, v69
	v_add_f32_e32 v44, v51, v44
	v_add_f32_e32 v51, v73, v59
	;; [unrolled: 1-line block ×5, first 2 shown]
	v_sub_f32_e32 v36, v91, v61
	v_add_f32_e32 v13, v31, v13
	v_add_f32_e32 v12, v30, v12
	;; [unrolled: 1-line block ×8, first 2 shown]
	v_lshlrev_b32_e32 v14, 3, v133
	v_add_f32_e32 v51, v51, v44
	ds_write2_b64 v14, v[12:13], v[32:33] offset1:1
	ds_write2_b64 v14, v[34:35], v[50:51] offset0:2 offset1:3
	ds_write2_b64 v14, v[4:5], v[6:7] offset0:4 offset1:5
	ds_write2_b64 v14, v[8:9], v[10:11] offset0:6 offset1:7
	ds_write2_b64 v14, v[0:1], v[2:3] offset0:8 offset1:9
	ds_write_b64 v14, v[127:128] offset:80
.LBB0_7:
	s_or_b64 exec, exec, s[2:3]
	s_movk_i32 s12, 0x75
	v_mul_lo_u16_sdwa v12, v132, s12 dst_sel:DWORD dst_unused:UNUSED_PAD src0_sel:BYTE_0 src1_sel:DWORD
	v_sub_u16_sdwa v13, v132, v12 dst_sel:DWORD dst_unused:UNUSED_PAD src0_sel:DWORD src1_sel:BYTE_1
	v_lshrrev_b16_e32 v13, 1, v13
	v_and_b32_e32 v13, 0x7f, v13
	v_add_u16_sdwa v12, v13, v12 dst_sel:DWORD dst_unused:UNUSED_PAD src0_sel:DWORD src1_sel:BYTE_1
	v_lshrrev_b16_e32 v59, 3, v12
	v_mul_lo_u16_e32 v12, 11, v59
	v_sub_u16_e32 v12, v132, v12
	v_and_b32_e32 v69, 0xff, v12
	v_lshlrev_b32_e32 v20, 5, v69
	s_waitcnt lgkmcnt(0)
	; wave barrier
	s_waitcnt lgkmcnt(0)
	global_load_dwordx4 v[12:15], v20, s[4:5] offset:16
	global_load_dwordx4 v[16:19], v20, s[4:5]
	v_mul_lo_u16_sdwa v20, v56, s12 dst_sel:DWORD dst_unused:UNUSED_PAD src0_sel:BYTE_0 src1_sel:DWORD
	v_sub_u16_sdwa v21, v56, v20 dst_sel:DWORD dst_unused:UNUSED_PAD src0_sel:DWORD src1_sel:BYTE_1
	v_lshrrev_b16_e32 v21, 1, v21
	v_and_b32_e32 v21, 0x7f, v21
	v_add_u16_sdwa v20, v21, v20 dst_sel:DWORD dst_unused:UNUSED_PAD src0_sel:DWORD src1_sel:BYTE_1
	v_lshrrev_b16_e32 v70, 3, v20
	v_mul_lo_u16_e32 v20, 11, v70
	v_sub_u16_e32 v20, v56, v20
	v_and_b32_e32 v71, 0xff, v20
	s_movk_i32 s2, 0x6e
	v_lshlrev_b32_e32 v28, 5, v71
	v_add_co_u32_e64 v60, s[2:3], s2, v132
	global_load_dwordx4 v[24:27], v28, s[4:5]
	global_load_dwordx4 v[20:23], v28, s[4:5] offset:16
	v_mul_lo_u16_sdwa v28, v60, s12 dst_sel:DWORD dst_unused:UNUSED_PAD src0_sel:BYTE_0 src1_sel:DWORD
	v_sub_u16_sdwa v29, v60, v28 dst_sel:DWORD dst_unused:UNUSED_PAD src0_sel:DWORD src1_sel:BYTE_1
	v_lshrrev_b16_e32 v29, 1, v29
	v_and_b32_e32 v29, 0x7f, v29
	v_add_u16_sdwa v28, v29, v28 dst_sel:DWORD dst_unused:UNUSED_PAD src0_sel:DWORD src1_sel:BYTE_1
	v_lshrrev_b16_e32 v72, 3, v28
	v_mul_lo_u16_e32 v28, 11, v72
	v_sub_u16_e32 v28, v60, v28
	v_and_b32_e32 v73, 0xff, v28
	v_lshlrev_b32_e32 v36, 5, v73
	global_load_dwordx4 v[32:35], v36, s[4:5]
	global_load_dwordx4 v[28:31], v36, s[4:5] offset:16
	ds_read2_b64 v[36:39], v131 offset1:55
	ds_read2_b64 v[40:43], v131 offset0:110 offset1:165
	v_add_u32_e32 v82, 0x800, v131
	v_add_u32_e32 v94, 0x1000, v131
	;; [unrolled: 1-line block ×3, first 2 shown]
	ds_read_b64 v[57:58], v131 offset:6160
	ds_read2_b64 v[44:47], v82 offset0:74 offset1:129
	ds_read2_b64 v[48:51], v82 offset0:184 offset1:239
	ds_read2_b64 v[52:55], v94 offset0:148 offset1:203
	ds_read2_b64 v[61:64], v83 offset0:92 offset1:147
	ds_read2_b64 v[65:68], v94 offset0:38 offset1:93
	v_mul_u32_u24_e32 v59, 55, v59
	v_add_lshl_u32 v135, v59, v69, 3
	s_waitcnt lgkmcnt(0)
	; wave barrier
	s_waitcnt lgkmcnt(0)
	v_lshlrev_b32_e32 v59, 5, v132
	s_movk_i32 s2, 0x95
	v_lshlrev_b32_e32 v56, 4, v56
	s_waitcnt vmcnt(5)
	v_mul_f32_e32 v78, v51, v13
	s_waitcnt vmcnt(4)
	v_mul_f32_e32 v75, v42, v17
	v_mul_f32_e32 v76, v45, v19
	;; [unrolled: 1-line block ×4, first 2 shown]
	v_fmac_f32_e32 v75, v43, v16
	v_fma_f32 v76, v44, v18, -v76
	v_fma_f32 v50, v50, v12, -v78
	v_mul_f32_e32 v77, v44, v19
	v_mul_f32_e32 v81, v52, v15
	;; [unrolled: 1-line block ×3, first 2 shown]
	v_fmac_f32_e32 v81, v53, v14
	v_fma_f32 v74, v42, v16, -v74
	v_fmac_f32_e32 v77, v45, v18
	s_waitcnt vmcnt(3)
	v_mul_f32_e32 v85, v61, v25
	v_mul_f32_e32 v86, v47, v27
	;; [unrolled: 1-line block ×3, first 2 shown]
	s_waitcnt vmcnt(2)
	v_mul_f32_e32 v88, v66, v21
	v_fmac_f32_e32 v85, v62, v24
	v_fma_f32 v62, v46, v26, -v86
	v_mul_f32_e32 v89, v65, v21
	v_fma_f32 v65, v65, v20, -v88
	v_mul_f32_e32 v87, v46, v27
	v_fmac_f32_e32 v79, v51, v12
	v_fma_f32 v51, v52, v14, -v80
	s_waitcnt vmcnt(1)
	v_mul_f32_e32 v43, v49, v35
	s_waitcnt vmcnt(0)
	v_mul_f32_e32 v44, v68, v29
	v_fma_f32 v86, v48, v34, -v43
	v_add_f32_e32 v43, v76, v50
	v_fma_f32 v88, v67, v28, -v44
	v_fma_f32 v44, -0.5, v43, v36
	v_sub_f32_e32 v43, v75, v81
	v_mov_b32_e32 v46, v44
	v_fmac_f32_e32 v87, v47, v26
	v_mul_f32_e32 v80, v48, v35
	v_fmac_f32_e32 v46, 0x3f737871, v43
	v_sub_f32_e32 v45, v77, v79
	v_sub_f32_e32 v47, v74, v76
	;; [unrolled: 1-line block ×3, first 2 shown]
	v_fmac_f32_e32 v44, 0xbf737871, v43
	v_mul_f32_e32 v90, v55, v23
	v_mul_f32_e32 v42, v64, v33
	v_fmac_f32_e32 v46, 0x3f167918, v45
	v_add_f32_e32 v47, v47, v48
	v_fmac_f32_e32 v44, 0xbf167918, v45
	v_fma_f32 v61, v61, v24, -v84
	v_fmac_f32_e32 v89, v66, v20
	v_fma_f32 v66, v54, v22, -v90
	v_fma_f32 v84, v63, v32, -v42
	v_mul_f32_e32 v90, v67, v29
	v_mul_f32_e32 v42, v58, v31
	v_fmac_f32_e32 v46, 0x3e9e377a, v47
	v_fmac_f32_e32 v44, 0x3e9e377a, v47
	v_add_f32_e32 v47, v74, v51
	v_fmac_f32_e32 v90, v68, v28
	v_fma_f32 v68, v57, v30, -v42
	v_add_f32_e32 v42, v36, v74
	v_fma_f32 v36, -0.5, v47, v36
	v_mov_b32_e32 v48, v36
	v_fmac_f32_e32 v80, v49, v34
	v_add_f32_e32 v42, v42, v76
	v_fmac_f32_e32 v48, 0xbf737871, v45
	v_sub_f32_e32 v47, v76, v74
	v_sub_f32_e32 v49, v50, v51
	v_fmac_f32_e32 v36, 0x3f737871, v45
	v_add_f32_e32 v45, v77, v79
	v_add_f32_e32 v42, v42, v50
	v_fmac_f32_e32 v48, 0x3f167918, v43
	v_add_f32_e32 v47, v47, v49
	v_fmac_f32_e32 v36, 0xbf167918, v43
	v_fma_f32 v45, -0.5, v45, v37
	v_add_f32_e32 v42, v42, v51
	v_fmac_f32_e32 v48, 0x3e9e377a, v47
	v_fmac_f32_e32 v36, 0x3e9e377a, v47
	v_sub_f32_e32 v51, v74, v51
	v_mov_b32_e32 v47, v45
	v_fmac_f32_e32 v47, 0xbf737871, v51
	v_sub_f32_e32 v50, v76, v50
	v_sub_f32_e32 v49, v75, v77
	;; [unrolled: 1-line block ×3, first 2 shown]
	v_fmac_f32_e32 v45, 0x3f737871, v51
	v_fmac_f32_e32 v47, 0xbf167918, v50
	v_add_f32_e32 v49, v49, v52
	v_fmac_f32_e32 v45, 0x3f167918, v50
	v_fmac_f32_e32 v47, 0x3e9e377a, v49
	;; [unrolled: 1-line block ×3, first 2 shown]
	v_add_f32_e32 v49, v75, v81
	v_add_f32_e32 v43, v37, v75
	v_fma_f32 v37, -0.5, v49, v37
	v_mov_b32_e32 v49, v37
	v_fmac_f32_e32 v49, 0x3f737871, v50
	v_sub_f32_e32 v52, v77, v75
	v_sub_f32_e32 v53, v79, v81
	v_fmac_f32_e32 v37, 0xbf737871, v50
	v_mul_f32_e32 v91, v54, v23
	v_fmac_f32_e32 v49, 0xbf167918, v51
	v_add_f32_e32 v52, v52, v53
	v_fmac_f32_e32 v37, 0x3f167918, v51
	v_add_f32_e32 v51, v62, v65
	v_fmac_f32_e32 v91, v55, v22
	v_fmac_f32_e32 v49, 0x3e9e377a, v52
	v_fmac_f32_e32 v37, 0x3e9e377a, v52
	v_fma_f32 v52, -0.5, v51, v38
	v_sub_f32_e32 v51, v85, v91
	v_mov_b32_e32 v54, v52
	v_mul_f32_e32 v92, v57, v31
	v_fmac_f32_e32 v54, 0x3f737871, v51
	v_sub_f32_e32 v53, v87, v89
	v_sub_f32_e32 v55, v61, v62
	;; [unrolled: 1-line block ×3, first 2 shown]
	v_fmac_f32_e32 v52, 0xbf737871, v51
	v_fmac_f32_e32 v54, 0x3f167918, v53
	v_add_f32_e32 v55, v55, v57
	v_fmac_f32_e32 v52, 0xbf167918, v53
	v_fmac_f32_e32 v54, 0x3e9e377a, v55
	;; [unrolled: 1-line block ×3, first 2 shown]
	v_add_f32_e32 v55, v61, v66
	v_add_f32_e32 v50, v38, v61
	v_fma_f32 v38, -0.5, v55, v38
	v_mov_b32_e32 v57, v38
	v_fmac_f32_e32 v92, v58, v30
	v_fmac_f32_e32 v57, 0xbf737871, v53
	v_sub_f32_e32 v55, v62, v61
	v_sub_f32_e32 v58, v65, v66
	v_fmac_f32_e32 v38, 0x3f737871, v53
	v_add_f32_e32 v53, v87, v89
	v_fmac_f32_e32 v57, 0x3f167918, v51
	v_add_f32_e32 v55, v55, v58
	v_fmac_f32_e32 v38, 0xbf167918, v51
	v_fma_f32 v53, -0.5, v53, v39
	v_fmac_f32_e32 v57, 0x3e9e377a, v55
	v_fmac_f32_e32 v38, 0x3e9e377a, v55
	v_sub_f32_e32 v61, v61, v66
	v_mov_b32_e32 v55, v53
	v_mul_f32_e32 v78, v63, v33
	v_add_f32_e32 v50, v50, v62
	v_fmac_f32_e32 v55, 0xbf737871, v61
	v_sub_f32_e32 v62, v62, v65
	v_sub_f32_e32 v58, v85, v87
	;; [unrolled: 1-line block ×3, first 2 shown]
	v_fmac_f32_e32 v53, 0x3f737871, v61
	v_fmac_f32_e32 v55, 0xbf167918, v62
	v_add_f32_e32 v58, v58, v63
	v_fmac_f32_e32 v53, 0x3f167918, v62
	v_fmac_f32_e32 v55, 0x3e9e377a, v58
	;; [unrolled: 1-line block ×3, first 2 shown]
	v_add_f32_e32 v58, v85, v91
	v_add_f32_e32 v51, v39, v85
	v_fmac_f32_e32 v39, -0.5, v58
	v_mov_b32_e32 v58, v39
	v_fmac_f32_e32 v78, v64, v32
	v_fmac_f32_e32 v58, 0x3f737871, v62
	v_sub_f32_e32 v63, v87, v85
	v_sub_f32_e32 v64, v89, v91
	v_fmac_f32_e32 v39, 0xbf737871, v62
	v_fmac_f32_e32 v58, 0xbf167918, v61
	v_add_f32_e32 v63, v63, v64
	v_fmac_f32_e32 v39, 0x3f167918, v61
	v_add_f32_e32 v62, v86, v88
	v_fmac_f32_e32 v58, 0x3e9e377a, v63
	v_fmac_f32_e32 v39, 0x3e9e377a, v63
	v_fma_f32 v63, -0.5, v62, v40
	v_add_f32_e32 v50, v50, v65
	v_sub_f32_e32 v62, v78, v92
	v_mov_b32_e32 v65, v63
	v_add_f32_e32 v50, v50, v66
	v_fmac_f32_e32 v65, 0x3f737871, v62
	v_sub_f32_e32 v64, v80, v90
	v_sub_f32_e32 v66, v84, v86
	;; [unrolled: 1-line block ×3, first 2 shown]
	v_fmac_f32_e32 v63, 0xbf737871, v62
	v_fmac_f32_e32 v65, 0x3f167918, v64
	v_add_f32_e32 v66, v66, v67
	v_fmac_f32_e32 v63, 0xbf167918, v64
	v_fmac_f32_e32 v65, 0x3e9e377a, v66
	;; [unrolled: 1-line block ×3, first 2 shown]
	v_add_f32_e32 v66, v84, v68
	v_add_f32_e32 v61, v40, v84
	v_fma_f32 v40, -0.5, v66, v40
	v_mov_b32_e32 v67, v40
	v_fmac_f32_e32 v67, 0xbf737871, v64
	v_sub_f32_e32 v66, v86, v84
	v_sub_f32_e32 v74, v88, v68
	v_fmac_f32_e32 v40, 0x3f737871, v64
	v_add_f32_e32 v64, v80, v90
	v_add_f32_e32 v61, v61, v86
	v_fmac_f32_e32 v67, 0x3f167918, v62
	v_add_f32_e32 v66, v66, v74
	v_fmac_f32_e32 v40, 0xbf167918, v62
	v_fma_f32 v64, -0.5, v64, v41
	v_add_f32_e32 v61, v61, v88
	v_fmac_f32_e32 v67, 0x3e9e377a, v66
	v_fmac_f32_e32 v40, 0x3e9e377a, v66
	v_sub_f32_e32 v74, v84, v68
	v_mov_b32_e32 v66, v64
	v_add_f32_e32 v61, v61, v68
	v_fmac_f32_e32 v66, 0xbf737871, v74
	v_sub_f32_e32 v75, v86, v88
	v_sub_f32_e32 v68, v78, v80
	;; [unrolled: 1-line block ×3, first 2 shown]
	v_fmac_f32_e32 v64, 0x3f737871, v74
	v_add_f32_e32 v43, v43, v77
	v_fmac_f32_e32 v66, 0xbf167918, v75
	v_add_f32_e32 v68, v68, v76
	;; [unrolled: 2-line block ×3, first 2 shown]
	v_fmac_f32_e32 v66, 0x3e9e377a, v68
	v_fmac_f32_e32 v64, 0x3e9e377a, v68
	v_add_f32_e32 v68, v78, v92
	v_add_f32_e32 v43, v43, v81
	;; [unrolled: 1-line block ×3, first 2 shown]
	v_fmac_f32_e32 v41, -0.5, v68
	v_add_f32_e32 v51, v51, v87
	v_add_f32_e32 v62, v62, v80
	v_mov_b32_e32 v68, v41
	v_sub_f32_e32 v76, v80, v78
	v_sub_f32_e32 v77, v90, v92
	v_fmac_f32_e32 v41, 0xbf737871, v75
	ds_write2_b64 v135, v[42:43], v[46:47] offset1:11
	ds_write2_b64 v135, v[48:49], v[36:37] offset0:22 offset1:33
	ds_write_b64 v135, v[44:45] offset:352
	v_mul_u32_u24_e32 v36, 55, v70
	v_add_f32_e32 v51, v51, v89
	v_add_f32_e32 v62, v62, v90
	v_fmac_f32_e32 v68, 0x3f737871, v75
	v_add_f32_e32 v76, v76, v77
	v_fmac_f32_e32 v41, 0x3f167918, v74
	v_add_lshl_u32 v136, v36, v71, 3
	v_mul_u32_u24_e32 v36, 55, v72
	v_add_f32_e32 v51, v51, v91
	v_add_f32_e32 v62, v62, v92
	v_fmac_f32_e32 v68, 0xbf167918, v74
	v_fmac_f32_e32 v41, 0x3e9e377a, v76
	v_add_lshl_u32 v137, v36, v73, 3
	v_fmac_f32_e32 v68, 0x3e9e377a, v76
	ds_write2_b64 v136, v[50:51], v[54:55] offset1:11
	ds_write2_b64 v136, v[57:58], v[38:39] offset0:22 offset1:33
	ds_write_b64 v136, v[52:53] offset:352
	ds_write2_b64 v137, v[61:62], v[65:66] offset1:11
	ds_write2_b64 v137, v[67:68], v[40:41] offset0:22 offset1:33
	ds_write_b64 v137, v[63:64] offset:352
	s_waitcnt lgkmcnt(0)
	; wave barrier
	s_waitcnt lgkmcnt(0)
	global_load_dwordx4 v[40:43], v59, s[4:5] offset:352
	global_load_dwordx4 v[36:39], v59, s[4:5] offset:368
	v_mul_lo_u16_sdwa v44, v60, s2 dst_sel:DWORD dst_unused:UNUSED_PAD src0_sel:BYTE_0 src1_sel:DWORD
	v_lshrrev_b16_e32 v44, 13, v44
	v_mul_lo_u16_e32 v44, 55, v44
	v_sub_u16_e32 v81, v60, v44
	v_mov_b32_e32 v44, 5
	v_lshlrev_b32_sdwa v52, v44, v81 dst_sel:DWORD dst_unused:UNUSED_PAD src0_sel:DWORD src1_sel:BYTE_0
	global_load_dwordx4 v[48:51], v52, s[4:5] offset:352
	global_load_dwordx4 v[44:47], v52, s[4:5] offset:368
	ds_read2_b64 v[52:55], v131 offset1:55
	ds_read2_b64 v[61:64], v131 offset0:110 offset1:165
	ds_read2_b64 v[65:68], v82 offset0:74 offset1:129
	;; [unrolled: 1-line block ×6, first 2 shown]
	ds_read_b64 v[57:58], v131 offset:6160
	s_waitcnt lgkmcnt(0)
	; wave barrier
	s_waitcnt lgkmcnt(0)
	v_mov_b32_e32 v89, s5
	v_add_co_u32_e64 v59, s[2:3], s4, v59
	v_lshlrev_b32_e32 v88, 4, v132
	v_addc_co_u32_e64 v89, s[2:3], 0, v89, s[2:3]
	v_lshlrev_b32_e32 v60, 4, v60
	s_waitcnt vmcnt(3)
	v_mul_f32_e32 v90, v64, v41
	v_fma_f32 v90, v63, v40, -v90
	v_mul_f32_e32 v91, v63, v41
	v_mul_f32_e32 v63, v66, v43
	v_fma_f32 v92, v65, v42, -v63
	s_waitcnt vmcnt(2)
	v_mul_f32_e32 v63, v72, v37
	v_mul_f32_e32 v93, v65, v43
	v_fma_f32 v95, v71, v36, -v63
	v_mul_f32_e32 v71, v71, v37
	v_mul_f32_e32 v63, v74, v39
	v_fmac_f32_e32 v93, v66, v42
	v_fmac_f32_e32 v71, v72, v36
	v_fma_f32 v66, v73, v38, -v63
	v_mul_f32_e32 v72, v73, v39
	v_mul_f32_e32 v63, v78, v41
	v_fmac_f32_e32 v72, v74, v38
	v_fma_f32 v74, v77, v40, -v63
	v_mul_f32_e32 v77, v77, v41
	v_mul_f32_e32 v63, v68, v43
	v_fmac_f32_e32 v77, v78, v40
	v_fma_f32 v78, v67, v42, -v63
	v_mul_f32_e32 v63, v85, v37
	v_fma_f32 v97, v84, v36, -v63
	v_mul_f32_e32 v84, v84, v37
	v_mul_f32_e32 v63, v76, v39
	v_fmac_f32_e32 v84, v85, v36
	v_fma_f32 v85, v75, v38, -v63
	s_waitcnt vmcnt(1)
	v_mul_f32_e32 v63, v80, v49
	v_fma_f32 v99, v79, v48, -v63
	v_mul_f32_e32 v63, v70, v51
	v_fma_f32 v101, v69, v50, -v63
	s_waitcnt vmcnt(0)
	v_mul_f32_e32 v63, v87, v45
	v_mul_f32_e32 v139, v57, v47
	v_fma_f32 v130, v86, v44, -v63
	v_mul_f32_e32 v138, v86, v45
	v_mul_f32_e32 v63, v58, v47
	v_fmac_f32_e32 v139, v58, v46
	v_add_f32_e32 v58, v92, v95
	v_fmac_f32_e32 v91, v64, v40
	v_fmac_f32_e32 v138, v87, v44
	v_fma_f32 v87, v57, v46, -v63
	v_fma_f32 v63, -0.5, v58, v52
	v_mul_f32_e32 v96, v67, v43
	v_sub_f32_e32 v58, v91, v72
	v_mov_b32_e32 v65, v63
	v_fmac_f32_e32 v96, v68, v42
	v_fmac_f32_e32 v65, 0x3f737871, v58
	v_sub_f32_e32 v64, v93, v71
	v_sub_f32_e32 v67, v90, v92
	;; [unrolled: 1-line block ×3, first 2 shown]
	v_fmac_f32_e32 v63, 0xbf737871, v58
	v_fmac_f32_e32 v65, 0x3f167918, v64
	v_add_f32_e32 v67, v67, v68
	v_fmac_f32_e32 v63, 0xbf167918, v64
	v_fmac_f32_e32 v65, 0x3e9e377a, v67
	;; [unrolled: 1-line block ×3, first 2 shown]
	v_add_f32_e32 v67, v90, v66
	v_add_f32_e32 v57, v52, v90
	v_fma_f32 v52, -0.5, v67, v52
	v_mov_b32_e32 v67, v52
	v_add_f32_e32 v57, v57, v92
	v_fmac_f32_e32 v67, 0xbf737871, v64
	v_fmac_f32_e32 v52, 0x3f737871, v64
	v_add_f32_e32 v64, v93, v71
	v_mul_f32_e32 v129, v69, v51
	v_add_f32_e32 v57, v57, v95
	v_sub_f32_e32 v68, v92, v90
	v_sub_f32_e32 v69, v95, v66
	v_fma_f32 v64, -0.5, v64, v53
	v_add_f32_e32 v57, v57, v66
	v_fmac_f32_e32 v67, 0x3f167918, v58
	v_add_f32_e32 v68, v68, v69
	v_fmac_f32_e32 v52, 0xbf167918, v58
	v_sub_f32_e32 v69, v90, v66
	v_mov_b32_e32 v66, v64
	v_fmac_f32_e32 v129, v70, v50
	v_fmac_f32_e32 v67, 0x3e9e377a, v68
	;; [unrolled: 1-line block ×4, first 2 shown]
	v_sub_f32_e32 v70, v92, v95
	v_sub_f32_e32 v68, v91, v93
	v_sub_f32_e32 v73, v72, v71
	v_fmac_f32_e32 v64, 0x3f737871, v69
	v_fmac_f32_e32 v66, 0xbf167918, v70
	v_add_f32_e32 v68, v68, v73
	v_fmac_f32_e32 v64, 0x3f167918, v70
	v_fmac_f32_e32 v66, 0x3e9e377a, v68
	;; [unrolled: 1-line block ×3, first 2 shown]
	v_add_f32_e32 v68, v91, v72
	v_add_f32_e32 v58, v53, v91
	v_fma_f32 v53, -0.5, v68, v53
	v_add_f32_e32 v58, v58, v93
	v_mov_b32_e32 v68, v53
	v_add_f32_e32 v58, v58, v71
	v_fmac_f32_e32 v68, 0x3f737871, v70
	v_sub_f32_e32 v73, v93, v91
	v_sub_f32_e32 v71, v71, v72
	v_fmac_f32_e32 v53, 0xbf737871, v70
	v_mul_f32_e32 v98, v75, v39
	v_fmac_f32_e32 v68, 0xbf167918, v69
	v_add_f32_e32 v71, v73, v71
	v_fmac_f32_e32 v53, 0x3f167918, v69
	v_add_f32_e32 v70, v78, v97
	v_fmac_f32_e32 v98, v76, v38
	v_fmac_f32_e32 v68, 0x3e9e377a, v71
	;; [unrolled: 1-line block ×3, first 2 shown]
	v_fma_f32 v71, -0.5, v70, v54
	v_sub_f32_e32 v70, v77, v98
	v_mov_b32_e32 v73, v71
	v_add_f32_e32 v58, v58, v72
	v_fmac_f32_e32 v73, 0x3f737871, v70
	v_sub_f32_e32 v72, v96, v84
	v_sub_f32_e32 v75, v74, v78
	;; [unrolled: 1-line block ×3, first 2 shown]
	v_fmac_f32_e32 v71, 0xbf737871, v70
	v_fmac_f32_e32 v73, 0x3f167918, v72
	v_add_f32_e32 v75, v75, v76
	v_fmac_f32_e32 v71, 0xbf167918, v72
	v_fmac_f32_e32 v73, 0x3e9e377a, v75
	;; [unrolled: 1-line block ×3, first 2 shown]
	v_add_f32_e32 v75, v74, v85
	v_add_f32_e32 v69, v54, v74
	v_fma_f32 v54, -0.5, v75, v54
	v_mov_b32_e32 v75, v54
	v_fmac_f32_e32 v75, 0xbf737871, v72
	v_fmac_f32_e32 v54, 0x3f737871, v72
	v_add_f32_e32 v72, v96, v84
	v_mul_f32_e32 v100, v79, v49
	v_sub_f32_e32 v76, v78, v74
	v_sub_f32_e32 v79, v97, v85
	v_fma_f32 v72, -0.5, v72, v55
	v_fmac_f32_e32 v75, 0x3f167918, v70
	v_add_f32_e32 v76, v76, v79
	v_fmac_f32_e32 v54, 0xbf167918, v70
	v_sub_f32_e32 v79, v74, v85
	v_mov_b32_e32 v74, v72
	v_fmac_f32_e32 v100, v80, v48
	v_add_f32_e32 v69, v69, v78
	v_fmac_f32_e32 v75, 0x3e9e377a, v76
	v_fmac_f32_e32 v54, 0x3e9e377a, v76
	;; [unrolled: 1-line block ×3, first 2 shown]
	v_sub_f32_e32 v78, v78, v97
	v_sub_f32_e32 v76, v77, v96
	;; [unrolled: 1-line block ×3, first 2 shown]
	v_fmac_f32_e32 v72, 0x3f737871, v79
	v_fmac_f32_e32 v74, 0xbf167918, v78
	v_add_f32_e32 v76, v76, v80
	v_fmac_f32_e32 v72, 0x3f167918, v78
	v_fmac_f32_e32 v74, 0x3e9e377a, v76
	;; [unrolled: 1-line block ×3, first 2 shown]
	v_add_f32_e32 v76, v77, v98
	v_add_f32_e32 v70, v55, v77
	v_fmac_f32_e32 v55, -0.5, v76
	v_mov_b32_e32 v76, v55
	v_fmac_f32_e32 v76, 0x3f737871, v78
	v_fmac_f32_e32 v55, 0xbf737871, v78
	v_add_f32_e32 v78, v101, v130
	v_add_f32_e32 v70, v70, v96
	v_fmac_f32_e32 v76, 0xbf167918, v79
	v_fmac_f32_e32 v55, 0x3f167918, v79
	v_fma_f32 v79, -0.5, v78, v61
	v_add_f32_e32 v69, v69, v97
	v_add_f32_e32 v70, v70, v84
	v_sub_f32_e32 v77, v96, v77
	v_sub_f32_e32 v80, v84, v98
	;; [unrolled: 1-line block ×3, first 2 shown]
	v_mov_b32_e32 v84, v79
	v_add_f32_e32 v69, v69, v85
	v_add_f32_e32 v77, v77, v80
	v_fmac_f32_e32 v84, 0x3f737871, v78
	v_sub_f32_e32 v80, v129, v138
	v_sub_f32_e32 v85, v99, v101
	;; [unrolled: 1-line block ×3, first 2 shown]
	v_fmac_f32_e32 v79, 0xbf737871, v78
	v_fmac_f32_e32 v84, 0x3f167918, v80
	v_add_f32_e32 v85, v85, v86
	v_fmac_f32_e32 v79, 0xbf167918, v80
	v_fmac_f32_e32 v84, 0x3e9e377a, v85
	;; [unrolled: 1-line block ×3, first 2 shown]
	v_add_f32_e32 v85, v99, v87
	v_fmac_f32_e32 v76, 0x3e9e377a, v77
	v_fmac_f32_e32 v55, 0x3e9e377a, v77
	v_add_f32_e32 v77, v61, v99
	v_fma_f32 v61, -0.5, v85, v61
	v_mov_b32_e32 v86, v61
	v_fmac_f32_e32 v86, 0xbf737871, v80
	v_sub_f32_e32 v85, v101, v99
	v_sub_f32_e32 v90, v130, v87
	v_fmac_f32_e32 v61, 0x3f737871, v80
	v_add_f32_e32 v80, v129, v138
	v_add_f32_e32 v77, v77, v101
	v_fmac_f32_e32 v86, 0x3f167918, v78
	v_add_f32_e32 v85, v85, v90
	v_fmac_f32_e32 v61, 0xbf167918, v78
	v_fma_f32 v80, -0.5, v80, v62
	v_add_f32_e32 v77, v77, v130
	v_fmac_f32_e32 v86, 0x3e9e377a, v85
	v_fmac_f32_e32 v61, 0x3e9e377a, v85
	v_sub_f32_e32 v90, v99, v87
	v_mov_b32_e32 v85, v80
	v_add_f32_e32 v77, v77, v87
	v_fmac_f32_e32 v85, 0xbf737871, v90
	v_sub_f32_e32 v91, v101, v130
	v_sub_f32_e32 v87, v100, v129
	;; [unrolled: 1-line block ×3, first 2 shown]
	v_fmac_f32_e32 v80, 0x3f737871, v90
	v_fmac_f32_e32 v85, 0xbf167918, v91
	v_add_f32_e32 v87, v87, v92
	v_fmac_f32_e32 v80, 0x3f167918, v91
	v_fmac_f32_e32 v85, 0x3e9e377a, v87
	;; [unrolled: 1-line block ×3, first 2 shown]
	v_add_f32_e32 v87, v100, v139
	v_add_f32_e32 v78, v62, v100
	v_fmac_f32_e32 v62, -0.5, v87
	v_add_f32_e32 v70, v70, v98
	v_add_f32_e32 v78, v78, v129
	v_mov_b32_e32 v87, v62
	ds_write2_b64 v131, v[57:58], v[65:66] offset1:55
	ds_write2_b64 v131, v[67:68], v[52:53] offset0:110 offset1:165
	ds_write2_b64 v83, v[63:64], v[69:70] offset0:92 offset1:147
	;; [unrolled: 1-line block ×4, first 2 shown]
	v_mov_b32_e32 v52, 3
	v_add_f32_e32 v78, v78, v138
	v_fmac_f32_e32 v87, 0x3f737871, v91
	v_sub_f32_e32 v92, v129, v100
	v_sub_f32_e32 v93, v138, v139
	v_fmac_f32_e32 v62, 0xbf737871, v91
	v_lshlrev_b32_sdwa v138, v52, v81 dst_sel:DWORD dst_unused:UNUSED_PAD src0_sel:DWORD src1_sel:BYTE_0
	v_add_f32_e32 v78, v78, v139
	v_fmac_f32_e32 v87, 0xbf167918, v90
	v_add_f32_e32 v92, v92, v93
	v_fmac_f32_e32 v62, 0x3f167918, v90
	v_add_u32_e32 v52, 0x1000, v138
	v_fmac_f32_e32 v87, 0x3e9e377a, v92
	v_fmac_f32_e32 v62, 0x3e9e377a, v92
	ds_write2_b64 v52, v[77:78], v[84:85] offset0:38 offset1:93
	ds_write2_b64 v52, v[86:87], v[61:62] offset0:148 offset1:203
	ds_write_b64 v138, v[79:80] offset:6160
	v_sub_co_u32_e64 v52, s[2:3], v59, v88
	v_subbrev_co_u32_e64 v53, s[2:3], 0, v89, s[2:3]
	s_waitcnt lgkmcnt(0)
	; wave barrier
	s_waitcnt lgkmcnt(0)
	global_load_dwordx4 v[52:55], v[52:53], off offset:2112
	v_add_u32_e32 v64, 0xa50, v88
	global_load_dwordx4 v[56:59], v56, s[4:5] offset:2112
	v_add_u32_e32 v68, 0xdc0, v88
	global_load_dwordx4 v[60:63], v60, s[4:5] offset:2112
	v_mov_b32_e32 v72, s15
	global_load_dwordx4 v[64:67], v64, s[4:5] offset:2112
	v_addc_co_u32_e32 v101, vcc, 0, v72, vcc
	global_load_dwordx4 v[68:71], v68, s[4:5] offset:2112
	ds_read2_b64 v[84:87], v131 offset1:55
	ds_read2_b64 v[76:79], v83 offset0:92 offset1:147
	ds_read2_b64 v[88:91], v94 offset0:38 offset1:93
	;; [unrolled: 1-line block ×6, first 2 shown]
	ds_read_b64 v[80:81], v131 offset:6160
	s_movk_i32 s4, 0x1000
	s_movk_i32 s2, 0x19c8
	s_waitcnt vmcnt(4) lgkmcnt(6)
	v_mul_f32_e32 v92, v79, v53
	v_fma_f32 v92, v78, v52, -v92
	v_mul_f32_e32 v93, v78, v53
	s_waitcnt lgkmcnt(5)
	v_mul_f32_e32 v78, v89, v55
	v_fma_f32 v99, v88, v54, -v78
	s_waitcnt vmcnt(3) lgkmcnt(4)
	v_mul_f32_e32 v78, v96, v57
	v_fma_f32 v129, v95, v56, -v78
	v_mul_f32_e32 v95, v95, v57
	v_mul_f32_e32 v78, v91, v59
	v_fmac_f32_e32 v95, v96, v56
	v_fma_f32 v96, v90, v58, -v78
	s_waitcnt vmcnt(2)
	v_mul_f32_e32 v78, v98, v61
	v_fma_f32 v147, v97, v60, -v78
	v_mul_f32_e32 v148, v97, v61
	s_waitcnt lgkmcnt(2)
	v_mul_f32_e32 v78, v140, v63
	v_fmac_f32_e32 v148, v98, v60
	v_fma_f32 v149, v139, v62, -v78
	v_mul_f32_e32 v98, v139, v63
	s_waitcnt vmcnt(1) lgkmcnt(1)
	v_mul_f32_e32 v78, v144, v65
	v_fmac_f32_e32 v98, v140, v62
	v_fma_f32 v140, v143, v64, -v78
	v_mul_f32_e32 v143, v143, v65
	v_mul_f32_e32 v78, v142, v67
	v_fmac_f32_e32 v143, v144, v64
	v_fma_f32 v144, v141, v66, -v78
	v_mul_f32_e32 v141, v141, v67
	s_waitcnt vmcnt(0)
	v_mul_f32_e32 v78, v146, v69
	v_fmac_f32_e32 v93, v79, v52
	v_mul_f32_e32 v100, v88, v55
	v_fmac_f32_e32 v141, v142, v66
	v_fma_f32 v142, v145, v68, -v78
	v_mul_f32_e32 v145, v145, v69
	s_waitcnt lgkmcnt(0)
	v_mul_f32_e32 v78, v81, v71
	v_add_f32_e32 v79, v92, v99
	v_fmac_f32_e32 v100, v89, v54
	v_fmac_f32_e32 v145, v146, v68
	v_fma_f32 v146, v80, v70, -v78
	v_add_f32_e32 v78, v84, v92
	v_fma_f32 v84, -0.5, v79, v84
	v_mul_f32_e32 v150, v80, v71
	v_sub_f32_e32 v79, v93, v100
	v_mov_b32_e32 v88, v84
	v_add_f32_e32 v80, v93, v100
	v_fmac_f32_e32 v88, 0x3f5db3d7, v79
	v_fmac_f32_e32 v84, 0xbf5db3d7, v79
	v_add_f32_e32 v79, v85, v93
	v_fma_f32 v85, -0.5, v80, v85
	v_sub_f32_e32 v80, v92, v99
	v_mov_b32_e32 v89, v85
	v_fmac_f32_e32 v89, 0xbf5db3d7, v80
	v_fmac_f32_e32 v85, 0x3f5db3d7, v80
	v_add_f32_e32 v80, v86, v129
	v_mul_f32_e32 v130, v90, v59
	v_add_f32_e32 v90, v80, v96
	v_add_f32_e32 v80, v129, v96
	v_fmac_f32_e32 v130, v91, v58
	v_fma_f32 v86, -0.5, v80, v86
	v_sub_f32_e32 v80, v95, v130
	v_mov_b32_e32 v92, v86
	v_fmac_f32_e32 v92, 0x3f5db3d7, v80
	v_fmac_f32_e32 v86, 0xbf5db3d7, v80
	v_add_f32_e32 v80, v87, v95
	v_add_f32_e32 v91, v80, v130
	;; [unrolled: 1-line block ×3, first 2 shown]
	v_fmac_f32_e32 v87, -0.5, v80
	v_sub_f32_e32 v80, v129, v96
	v_mov_b32_e32 v93, v87
	v_fmac_f32_e32 v93, 0xbf5db3d7, v80
	v_fmac_f32_e32 v87, 0x3f5db3d7, v80
	v_add_f32_e32 v80, v72, v147
	v_add_f32_e32 v95, v80, v149
	;; [unrolled: 1-line block ×3, first 2 shown]
	v_fma_f32 v97, -0.5, v80, v72
	v_add_f32_e32 v78, v78, v99
	v_sub_f32_e32 v72, v148, v98
	v_mov_b32_e32 v99, v97
	v_fmac_f32_e32 v99, 0x3f5db3d7, v72
	v_fmac_f32_e32 v97, 0xbf5db3d7, v72
	v_add_f32_e32 v72, v73, v148
	v_add_f32_e32 v96, v72, v98
	;; [unrolled: 1-line block ×3, first 2 shown]
	v_fma_f32 v98, -0.5, v72, v73
	v_add_f32_e32 v79, v79, v100
	v_sub_f32_e32 v72, v147, v149
	v_mov_b32_e32 v100, v98
	v_fmac_f32_e32 v100, 0xbf5db3d7, v72
	v_fmac_f32_e32 v98, 0x3f5db3d7, v72
	v_add_f32_e32 v72, v74, v140
	v_add_f32_e32 v129, v72, v144
	;; [unrolled: 1-line block ×3, first 2 shown]
	v_fma_f32 v74, -0.5, v72, v74
	v_sub_f32_e32 v72, v143, v141
	v_mov_b32_e32 v139, v74
	v_fmac_f32_e32 v139, 0x3f5db3d7, v72
	v_fmac_f32_e32 v74, 0xbf5db3d7, v72
	v_add_f32_e32 v72, v75, v143
	v_add_f32_e32 v130, v72, v141
	;; [unrolled: 1-line block ×3, first 2 shown]
	v_fmac_f32_e32 v75, -0.5, v72
	v_sub_f32_e32 v72, v140, v144
	v_mov_b32_e32 v140, v75
	v_fmac_f32_e32 v140, 0xbf5db3d7, v72
	v_fmac_f32_e32 v75, 0x3f5db3d7, v72
	v_add_f32_e32 v72, v76, v142
	v_add_f32_e32 v80, v72, v146
	;; [unrolled: 1-line block ×3, first 2 shown]
	v_fmac_f32_e32 v150, v81, v70
	v_fma_f32 v76, -0.5, v72, v76
	v_sub_f32_e32 v73, v145, v150
	v_mov_b32_e32 v72, v76
	v_fmac_f32_e32 v72, 0x3f5db3d7, v73
	v_fmac_f32_e32 v76, 0xbf5db3d7, v73
	v_add_f32_e32 v73, v77, v145
	v_add_f32_e32 v81, v73, v150
	;; [unrolled: 1-line block ×3, first 2 shown]
	v_fmac_f32_e32 v77, -0.5, v73
	v_sub_f32_e32 v141, v142, v146
	v_mov_b32_e32 v73, v77
	v_fmac_f32_e32 v73, 0xbf5db3d7, v141
	v_fmac_f32_e32 v77, 0x3f5db3d7, v141
	ds_write_b64 v131, v[88:89] offset:2200
	ds_write_b64 v131, v[84:85] offset:4400
	ds_write2_b64 v131, v[78:79], v[90:91] offset1:55
	ds_write2_b64 v82, v[92:93], v[99:100] offset0:74 offset1:129
	ds_write2_b64 v94, v[86:87], v[97:98] offset0:93 offset1:148
	;; [unrolled: 1-line block ×3, first 2 shown]
	ds_write_b64 v131, v[74:75] offset:5720
	ds_write_b64 v131, v[80:81] offset:1760
	ds_write2_b64 v82, v[139:140], v[72:73] offset0:184 offset1:239
	ds_write_b64 v131, v[76:77] offset:6160
	v_add_co_u32_e32 v78, vcc, s4, v102
	v_addc_co_u32_e32 v79, vcc, 0, v101, vcc
	s_waitcnt lgkmcnt(0)
	; wave barrier
	s_waitcnt lgkmcnt(0)
	global_load_dwordx2 v[88:89], v[78:79], off offset:2504
	v_add_co_u32_e32 v78, vcc, s2, v102
	v_addc_co_u32_e32 v79, vcc, 0, v101, vcc
	global_load_dwordx2 v[90:91], v[78:79], off offset:600
	global_load_dwordx2 v[92:93], v[78:79], off offset:1200
	;; [unrolled: 1-line block ×5, first 2 shown]
	s_movk_i32 s2, 0x2000
	v_add_co_u32_e32 v84, vcc, s2, v102
	v_addc_co_u32_e32 v85, vcc, 0, v101, vcc
	global_load_dwordx2 v[129:130], v[84:85], off offset:2608
	global_load_dwordx2 v[139:140], v[78:79], off offset:3600
	;; [unrolled: 1-line block ×4, first 2 shown]
	v_add_co_u32_e32 v84, vcc, 0x3000, v102
	v_addc_co_u32_e32 v85, vcc, 0, v101, vcc
	global_load_dwordx2 v[145:146], v[84:85], off offset:312
	ds_read2_b64 v[84:87], v131 offset1:75
	s_waitcnt vmcnt(10) lgkmcnt(0)
	v_mul_f32_e32 v101, v85, v89
	v_mul_f32_e32 v148, v84, v89
	v_fma_f32 v147, v84, v88, -v101
	v_fmac_f32_e32 v148, v85, v88
	s_waitcnt vmcnt(9)
	v_mul_f32_e32 v84, v87, v91
	v_mul_f32_e32 v85, v86, v91
	v_fma_f32 v84, v86, v90, -v84
	v_fmac_f32_e32 v85, v87, v90
	ds_write2_b64 v131, v[147:148], v[84:85] offset1:75
	ds_read2_b64 v[84:87], v131 offset0:150 offset1:225
	s_waitcnt vmcnt(8) lgkmcnt(0)
	v_mul_f32_e32 v88, v85, v93
	v_fma_f32 v147, v84, v92, -v88
	ds_read2_b64 v[88:91], v82 offset0:44 offset1:119
	v_mul_f32_e32 v148, v84, v93
	v_fmac_f32_e32 v148, v85, v92
	s_waitcnt vmcnt(7)
	v_mul_f32_e32 v84, v87, v96
	v_mul_f32_e32 v85, v86, v96
	v_fma_f32 v84, v86, v95, -v84
	v_fmac_f32_e32 v85, v87, v95
	ds_write2_b64 v131, v[147:148], v[84:85] offset0:150 offset1:225
	s_waitcnt vmcnt(6) lgkmcnt(1)
	v_mul_f32_e32 v84, v89, v98
	v_mul_f32_e32 v85, v88, v98
	v_add_u32_e32 v86, 0xc00, v131
	v_fma_f32 v84, v88, v97, -v84
	v_fmac_f32_e32 v85, v89, v97
	s_waitcnt vmcnt(5)
	v_mul_f32_e32 v87, v91, v100
	ds_read2_b64 v[95:98], v86 offset0:66 offset1:141
	v_mul_f32_e32 v88, v90, v100
	v_fma_f32 v87, v90, v99, -v87
	v_fmac_f32_e32 v88, v91, v99
	ds_write2_b64 v82, v[84:85], v[87:88] offset0:44 offset1:119
	ds_read2_b64 v[87:90], v94 offset0:88 offset1:163
	s_waitcnt vmcnt(3) lgkmcnt(2)
	v_mul_f32_e32 v84, v96, v140
	v_mul_f32_e32 v85, v95, v140
	;; [unrolled: 1-line block ×4, first 2 shown]
	v_fma_f32 v84, v95, v139, -v84
	v_fmac_f32_e32 v85, v96, v139
	v_fma_f32 v91, v97, v129, -v91
	v_fmac_f32_e32 v92, v98, v129
	ds_write2_b64 v86, v[84:85], v[91:92] offset0:66 offset1:141
	s_waitcnt vmcnt(2) lgkmcnt(1)
	v_mul_f32_e32 v84, v88, v142
	v_mul_f32_e32 v85, v87, v142
	v_fma_f32 v84, v87, v141, -v84
	v_fmac_f32_e32 v85, v88, v141
	ds_read_b64 v[87:88], v131 offset:6000
	s_waitcnt vmcnt(1)
	v_mul_f32_e32 v91, v90, v144
	v_mul_f32_e32 v92, v89, v144
	v_fma_f32 v91, v89, v143, -v91
	v_fmac_f32_e32 v92, v90, v143
	ds_write2_b64 v94, v[84:85], v[91:92] offset0:88 offset1:163
	s_waitcnt vmcnt(0) lgkmcnt(1)
	v_mul_f32_e32 v84, v88, v146
	v_mul_f32_e32 v85, v87, v146
	v_fma_f32 v84, v87, v145, -v84
	v_fmac_f32_e32 v85, v88, v145
	ds_write_b64 v131, v[84:85] offset:6000
	s_and_saveexec_b64 s[2:3], s[0:1]
	s_cbranch_execz .LBB0_9
; %bb.8:
	global_load_dwordx2 v[84:85], v[78:79], off offset:440
	global_load_dwordx2 v[91:92], v[78:79], off offset:1040
	;; [unrolled: 1-line block ×7, first 2 shown]
	v_add_co_u32_e32 v78, vcc, s4, v78
	v_addc_co_u32_e32 v79, vcc, 0, v79, vcc
	global_load_dwordx2 v[157:158], v[78:79], off offset:544
	global_load_dwordx2 v[159:160], v[78:79], off offset:1144
	;; [unrolled: 1-line block ×3, first 2 shown]
	s_nop 0
	global_load_dwordx2 v[78:79], v[78:79], off offset:2344
	ds_read2_b64 v[87:90], v131 offset0:55 offset1:130
	ds_read2_b64 v[95:98], v83 offset0:77 offset1:152
	;; [unrolled: 1-line block ×5, first 2 shown]
	ds_read_b64 v[163:164], v131 offset:6440
	s_waitcnt vmcnt(10) lgkmcnt(5)
	v_mul_f32_e32 v165, v88, v85
	v_mul_f32_e32 v93, v87, v85
	s_waitcnt vmcnt(9)
	v_mul_f32_e32 v167, v90, v92
	v_mul_f32_e32 v85, v89, v92
	s_waitcnt vmcnt(8) lgkmcnt(4)
	v_mul_f32_e32 v101, v95, v100
	s_waitcnt vmcnt(7)
	v_mul_f32_e32 v169, v98, v130
	v_mul_f32_e32 v166, v97, v130
	s_waitcnt vmcnt(6) lgkmcnt(3)
	v_mul_f32_e32 v170, v140, v152
	v_mul_f32_e32 v130, v139, v152
	s_waitcnt vmcnt(5)
	v_mul_f32_e32 v171, v142, v154
	v_mul_f32_e32 v152, v141, v154
	s_waitcnt vmcnt(4) lgkmcnt(2)
	v_mul_f32_e32 v172, v144, v156
	v_mul_f32_e32 v154, v143, v156
	v_fma_f32 v92, v87, v84, -v165
	v_fmac_f32_e32 v93, v88, v84
	s_waitcnt vmcnt(3)
	v_mul_f32_e32 v87, v146, v158
	v_mul_f32_e32 v88, v145, v158
	v_mul_f32_e32 v168, v96, v100
	v_fma_f32 v84, v89, v91, -v167
	v_fmac_f32_e32 v85, v90, v91
	v_fmac_f32_e32 v101, v96, v99
	v_fma_f32 v165, v97, v129, -v169
	v_fmac_f32_e32 v166, v98, v129
	v_fma_f32 v129, v139, v151, -v170
	;; [unrolled: 2-line block ×4, first 2 shown]
	v_fmac_f32_e32 v154, v144, v155
	s_waitcnt vmcnt(2) lgkmcnt(1)
	v_mul_f32_e32 v89, v148, v160
	v_mul_f32_e32 v90, v147, v160
	s_waitcnt vmcnt(1)
	v_mul_f32_e32 v91, v150, v162
	v_mul_f32_e32 v96, v149, v162
	s_waitcnt vmcnt(0) lgkmcnt(0)
	v_mul_f32_e32 v97, v164, v79
	v_mul_f32_e32 v98, v163, v79
	v_fma_f32 v87, v145, v157, -v87
	v_fmac_f32_e32 v88, v146, v157
	v_fma_f32 v100, v95, v99, -v168
	ds_write2_b64 v131, v[92:93], v[84:85] offset0:55 offset1:130
	ds_write2_b64 v83, v[100:101], v[165:166] offset0:77 offset1:152
	;; [unrolled: 1-line block ×3, first 2 shown]
	v_fma_f32 v89, v147, v159, -v89
	v_fmac_f32_e32 v90, v148, v159
	v_fma_f32 v95, v149, v161, -v91
	v_fmac_f32_e32 v96, v150, v161
	;; [unrolled: 2-line block ×3, first 2 shown]
	ds_write2_b64 v86, v[153:154], v[87:88] offset0:121 offset1:196
	ds_write2_b64 v94, v[89:90], v[95:96] offset0:143 offset1:218
	ds_write_b64 v131, v[97:98] offset:6440
.LBB0_9:
	s_or_b64 exec, exec, s[2:3]
	s_waitcnt lgkmcnt(0)
	; wave barrier
	s_waitcnt lgkmcnt(0)
	ds_read2_b64 v[98:101], v131 offset1:75
	ds_read2_b64 v[90:93], v131 offset0:150 offset1:225
	ds_read2_b64 v[82:85], v82 offset0:44 offset1:119
	;; [unrolled: 1-line block ×4, first 2 shown]
	ds_read_b64 v[129:130], v131 offset:6000
	s_and_saveexec_b64 s[2:3], s[0:1]
	s_cbranch_execz .LBB0_11
; %bb.10:
	v_add_u32_e32 v0, 0x400, v131
	ds_read2_b64 v[72:75], v0 offset0:77 offset1:152
	v_add_u32_e32 v0, 0x800, v131
	ds_read2_b64 v[4:7], v0 offset0:99 offset1:174
	;; [unrolled: 2-line block ×3, first 2 shown]
	ds_read2_b64 v[8:11], v0 offset0:121 offset1:196
	v_add_u32_e32 v0, 0x1000, v131
	ds_read2_b64 v[0:3], v0 offset0:143 offset1:218
	ds_read_b64 v[127:128], v131 offset:6440
	s_waitcnt lgkmcnt(5)
	v_mov_b32_e32 v76, v74
	v_mov_b32_e32 v77, v75
	s_waitcnt lgkmcnt(3)
	v_mov_b32_e32 v74, v78
	v_mov_b32_e32 v75, v79
.LBB0_11:
	s_or_b64 exec, exec, s[2:3]
	s_waitcnt lgkmcnt(5)
	v_add_f32_e32 v78, v98, v100
	v_add_f32_e32 v79, v99, v101
	s_waitcnt lgkmcnt(4)
	v_add_f32_e32 v78, v78, v90
	v_add_f32_e32 v79, v79, v91
	v_add_f32_e32 v78, v78, v92
	v_add_f32_e32 v79, v79, v93
	s_waitcnt lgkmcnt(3)
	v_add_f32_e32 v78, v78, v82
	v_add_f32_e32 v79, v79, v83
	;; [unrolled: 5-line block ×4, first 2 shown]
	v_add_f32_e32 v78, v78, v96
	s_waitcnt lgkmcnt(0)
	v_add_f32_e32 v140, v130, v101
	v_sub_f32_e32 v101, v101, v130
	v_add_f32_e32 v79, v79, v97
	v_add_f32_e32 v78, v78, v129
	;; [unrolled: 1-line block ×3, first 2 shown]
	v_sub_f32_e32 v100, v100, v129
	v_mul_f32_e32 v129, 0xbf0a6770, v101
	v_mul_f32_e32 v143, 0xbf68dda4, v101
	;; [unrolled: 1-line block ×5, first 2 shown]
	v_add_f32_e32 v79, v79, v130
	s_mov_b32 s4, 0x3f575c64
	v_mov_b32_e32 v130, v129
	s_mov_b32 s5, 0x3ed4b147
	v_mov_b32_e32 v144, v143
	;; [unrolled: 2-line block ×3, first 2 shown]
	v_mov_b32_e32 v152, v151
	v_mov_b32_e32 v155, v101
	v_fmac_f32_e32 v130, 0x3f575c64, v139
	v_mul_f32_e32 v141, 0x3f575c64, v140
	v_fma_f32 v129, v139, s4, -v129
	v_fmac_f32_e32 v144, 0x3ed4b147, v139
	v_mul_f32_e32 v145, 0x3ed4b147, v140
	v_fma_f32 v143, v139, s5, -v143
	;; [unrolled: 3-line block ×5, first 2 shown]
	v_add_f32_e32 v130, v98, v130
	v_mov_b32_e32 v142, v141
	v_add_f32_e32 v129, v98, v129
	v_add_f32_e32 v144, v98, v144
	v_mov_b32_e32 v146, v145
	v_add_f32_e32 v143, v98, v143
	;; [unrolled: 3-line block ×5, first 2 shown]
	v_add_f32_e32 v101, v97, v91
	v_sub_f32_e32 v91, v91, v97
	v_fmac_f32_e32 v142, 0x3f0a6770, v100
	v_fmac_f32_e32 v141, 0xbf0a6770, v100
	;; [unrolled: 1-line block ×10, first 2 shown]
	v_add_f32_e32 v100, v96, v90
	v_sub_f32_e32 v90, v90, v96
	v_mul_f32_e32 v96, 0xbf68dda4, v91
	v_mov_b32_e32 v97, v96
	v_fmac_f32_e32 v97, 0x3ed4b147, v100
	v_add_f32_e32 v97, v97, v130
	v_mul_f32_e32 v130, 0x3ed4b147, v101
	v_add_f32_e32 v141, v99, v141
	v_mov_b32_e32 v139, v130
	v_fma_f32 v96, v100, s5, -v96
	v_fmac_f32_e32 v130, 0xbf68dda4, v90
	v_add_f32_e32 v96, v96, v129
	v_add_f32_e32 v129, v130, v141
	v_mul_f32_e32 v130, 0xbf4178ce, v91
	v_add_f32_e32 v142, v99, v142
	v_add_f32_e32 v146, v99, v146
	;; [unrolled: 1-line block ×9, first 2 shown]
	v_mov_b32_e32 v140, v130
	v_fma_f32 v130, v100, s13, -v130
	v_fmac_f32_e32 v139, 0x3f68dda4, v90
	v_fmac_f32_e32 v140, 0xbf27a4f4, v100
	v_mul_f32_e32 v141, 0xbf27a4f4, v101
	v_add_f32_e32 v130, v130, v143
	v_mul_f32_e32 v143, 0x3e903f40, v91
	v_add_f32_e32 v139, v139, v142
	v_add_f32_e32 v140, v140, v144
	v_mov_b32_e32 v142, v141
	v_fmac_f32_e32 v141, 0xbf4178ce, v90
	v_mov_b32_e32 v144, v143
	v_fma_f32 v143, v100, s14, -v143
	v_fmac_f32_e32 v142, 0x3f4178ce, v90
	v_add_f32_e32 v141, v141, v145
	v_fmac_f32_e32 v144, 0xbf75a155, v100
	v_mul_f32_e32 v145, 0xbf75a155, v101
	v_add_f32_e32 v143, v143, v147
	v_mul_f32_e32 v147, 0x3f7d64f0, v91
	v_add_f32_e32 v142, v142, v146
	v_add_f32_e32 v144, v144, v148
	v_mov_b32_e32 v146, v145
	v_fmac_f32_e32 v145, 0x3e903f40, v90
	v_mov_b32_e32 v148, v147
	v_fmac_f32_e32 v146, 0xbe903f40, v90
	v_add_f32_e32 v145, v145, v149
	v_fmac_f32_e32 v148, 0xbe11bafb, v100
	v_mul_f32_e32 v149, 0xbe11bafb, v101
	v_mul_f32_e32 v101, 0x3f575c64, v101
	v_add_f32_e32 v146, v146, v150
	v_add_f32_e32 v148, v148, v152
	v_mov_b32_e32 v150, v149
	v_fma_f32 v147, v100, s12, -v147
	v_mul_f32_e32 v91, 0x3f0a6770, v91
	v_mov_b32_e32 v152, v101
	v_fmac_f32_e32 v101, 0x3f0a6770, v90
	v_fmac_f32_e32 v150, 0xbf7d64f0, v90
	v_add_f32_e32 v147, v147, v151
	v_fmac_f32_e32 v149, 0x3f7d64f0, v90
	v_mov_b32_e32 v151, v91
	v_fmac_f32_e32 v152, 0xbf0a6770, v90
	v_fma_f32 v91, v100, s4, -v91
	v_add_f32_e32 v90, v101, v99
	v_add_f32_e32 v99, v95, v93
	v_sub_f32_e32 v93, v93, v95
	v_add_f32_e32 v91, v91, v98
	v_add_f32_e32 v98, v94, v92
	v_sub_f32_e32 v92, v92, v94
	v_mul_f32_e32 v94, 0xbf7d64f0, v93
	v_mov_b32_e32 v95, v94
	v_fmac_f32_e32 v95, 0xbe11bafb, v98
	v_add_f32_e32 v95, v95, v97
	v_mul_f32_e32 v97, 0xbe11bafb, v99
	v_fmac_f32_e32 v151, 0x3f575c64, v100
	v_mov_b32_e32 v100, v97
	v_fma_f32 v94, v98, s12, -v94
	v_fmac_f32_e32 v97, 0xbf7d64f0, v92
	v_add_f32_e32 v94, v94, v96
	v_add_f32_e32 v96, v97, v129
	v_mul_f32_e32 v97, 0x3e903f40, v93
	v_mov_b32_e32 v101, v97
	v_fma_f32 v97, v98, s14, -v97
	v_fmac_f32_e32 v100, 0x3f7d64f0, v92
	v_fmac_f32_e32 v101, 0xbf75a155, v98
	v_mul_f32_e32 v129, 0xbf75a155, v99
	v_add_f32_e32 v97, v97, v130
	v_mul_f32_e32 v130, 0x3f68dda4, v93
	v_add_f32_e32 v100, v100, v139
	v_add_f32_e32 v101, v101, v140
	v_mov_b32_e32 v139, v129
	v_fmac_f32_e32 v129, 0x3e903f40, v92
	v_mov_b32_e32 v140, v130
	v_fma_f32 v130, v98, s5, -v130
	v_fmac_f32_e32 v139, 0xbe903f40, v92
	v_add_f32_e32 v129, v129, v141
	v_fmac_f32_e32 v140, 0x3ed4b147, v98
	v_mul_f32_e32 v141, 0x3ed4b147, v99
	v_add_f32_e32 v130, v130, v143
	v_mul_f32_e32 v143, 0xbf0a6770, v93
	v_add_f32_e32 v139, v139, v142
	v_add_f32_e32 v140, v140, v144
	v_mov_b32_e32 v142, v141
	v_fmac_f32_e32 v141, 0x3f68dda4, v92
	v_mov_b32_e32 v144, v143
	v_fma_f32 v143, v98, s4, -v143
	v_mul_f32_e32 v93, 0xbf4178ce, v93
	v_fmac_f32_e32 v142, 0xbf68dda4, v92
	v_add_f32_e32 v141, v141, v145
	v_fmac_f32_e32 v144, 0x3f575c64, v98
	v_mul_f32_e32 v145, 0x3f575c64, v99
	v_add_f32_e32 v143, v143, v147
	v_mov_b32_e32 v147, v93
	v_mul_f32_e32 v99, 0xbf27a4f4, v99
	v_fma_f32 v93, v98, s13, -v93
	v_add_f32_e32 v142, v142, v146
	v_add_f32_e32 v144, v144, v148
	v_mov_b32_e32 v146, v145
	v_mov_b32_e32 v148, v99
	v_add_f32_e32 v91, v93, v91
	v_add_f32_e32 v93, v89, v83
	v_sub_f32_e32 v83, v83, v89
	v_fmac_f32_e32 v146, 0x3f0a6770, v92
	v_fmac_f32_e32 v145, 0xbf0a6770, v92
	;; [unrolled: 1-line block ×4, first 2 shown]
	v_add_f32_e32 v92, v88, v82
	v_sub_f32_e32 v82, v82, v88
	v_mul_f32_e32 v88, 0xbf4178ce, v83
	v_mov_b32_e32 v89, v88
	v_fmac_f32_e32 v89, 0xbf27a4f4, v92
	v_add_f32_e32 v89, v89, v95
	v_mul_f32_e32 v95, 0xbf27a4f4, v93
	v_fmac_f32_e32 v147, 0xbf27a4f4, v98
	v_mov_b32_e32 v98, v95
	v_fma_f32 v88, v92, s13, -v88
	v_fmac_f32_e32 v95, 0xbf4178ce, v82
	v_add_f32_e32 v90, v99, v90
	v_fmac_f32_e32 v98, 0x3f4178ce, v82
	v_add_f32_e32 v88, v88, v94
	v_add_f32_e32 v94, v95, v96
	v_mul_f32_e32 v95, 0x3f7d64f0, v83
	v_mul_f32_e32 v99, 0xbe11bafb, v93
	v_add_f32_e32 v98, v98, v100
	v_mov_b32_e32 v96, v95
	v_mov_b32_e32 v100, v99
	v_fma_f32 v95, v92, s12, -v95
	v_fmac_f32_e32 v99, 0x3f7d64f0, v82
	v_fmac_f32_e32 v96, 0xbe11bafb, v92
	v_add_f32_e32 v95, v95, v97
	v_add_f32_e32 v97, v99, v129
	v_mul_f32_e32 v99, 0xbf0a6770, v83
	v_add_f32_e32 v96, v96, v101
	v_mov_b32_e32 v101, v99
	v_fma_f32 v99, v92, s4, -v99
	v_fmac_f32_e32 v101, 0x3f575c64, v92
	v_add_f32_e32 v99, v99, v130
	v_mul_f32_e32 v130, 0xbe903f40, v83
	v_fmac_f32_e32 v100, 0xbf7d64f0, v82
	v_add_f32_e32 v101, v101, v140
	v_mul_f32_e32 v129, 0x3f575c64, v93
	v_mov_b32_e32 v140, v130
	v_fma_f32 v130, v92, s14, -v130
	v_mul_f32_e32 v83, 0x3f68dda4, v83
	v_add_f32_e32 v150, v150, v154
	v_add_f32_e32 v151, v151, v155
	;; [unrolled: 1-line block ×3, first 2 shown]
	v_mov_b32_e32 v139, v129
	v_fmac_f32_e32 v129, 0xbf0a6770, v82
	v_add_f32_e32 v130, v130, v143
	v_mov_b32_e32 v143, v83
	v_add_f32_e32 v149, v149, v153
	v_add_f32_e32 v146, v146, v150
	;; [unrolled: 1-line block ×3, first 2 shown]
	v_fmac_f32_e32 v139, 0x3f0a6770, v82
	v_add_f32_e32 v129, v129, v141
	v_fmac_f32_e32 v140, 0xbf75a155, v92
	v_mul_f32_e32 v141, 0xbf75a155, v93
	v_fmac_f32_e32 v143, 0x3ed4b147, v92
	v_mul_f32_e32 v93, 0x3ed4b147, v93
	v_sub_f32_e32 v150, v85, v87
	v_add_f32_e32 v152, v152, v156
	v_add_f32_e32 v145, v145, v149
	;; [unrolled: 1-line block ×4, first 2 shown]
	v_mov_b32_e32 v142, v141
	v_add_f32_e32 v143, v143, v147
	v_mov_b32_e32 v144, v93
	v_add_f32_e32 v147, v86, v84
	v_sub_f32_e32 v149, v84, v86
	v_mul_f32_e32 v84, 0xbe903f40, v150
	v_add_f32_e32 v148, v148, v152
	v_fmac_f32_e32 v142, 0x3e903f40, v82
	v_fmac_f32_e32 v141, 0xbe903f40, v82
	;; [unrolled: 1-line block ×4, first 2 shown]
	v_mov_b32_e32 v82, v84
	v_add_f32_e32 v144, v144, v148
	v_add_f32_e32 v148, v87, v85
	v_fmac_f32_e32 v82, 0xbf75a155, v147
	v_fma_f32 v84, v147, s14, -v84
	v_fma_f32 v83, v92, s5, -v83
	v_add_f32_e32 v82, v82, v89
	v_add_f32_e32 v84, v84, v88
	v_mul_f32_e32 v88, 0x3f0a6770, v150
	v_mul_f32_e32 v89, 0x3f575c64, v148
	;; [unrolled: 1-line block ×3, first 2 shown]
	v_add_f32_e32 v142, v142, v146
	v_add_f32_e32 v146, v93, v90
	v_mul_f32_e32 v85, 0xbf75a155, v148
	v_mov_b32_e32 v86, v88
	v_mov_b32_e32 v87, v89
	;; [unrolled: 1-line block ×3, first 2 shown]
	v_add_f32_e32 v141, v141, v145
	v_add_f32_e32 v145, v83, v91
	v_mov_b32_e32 v83, v85
	v_fmac_f32_e32 v86, 0x3f575c64, v147
	v_fmac_f32_e32 v87, 0xbf0a6770, v149
	;; [unrolled: 1-line block ×6, first 2 shown]
	v_add_f32_e32 v86, v86, v96
	v_add_f32_e32 v87, v87, v100
	v_fma_f32 v88, v147, s4, -v88
	v_add_f32_e32 v89, v89, v97
	v_add_f32_e32 v90, v90, v101
	v_mul_f32_e32 v93, 0xbf27a4f4, v148
	v_fma_f32 v92, v147, s13, -v92
	v_mul_f32_e32 v96, 0x3f68dda4, v150
	v_mul_f32_e32 v97, 0x3ed4b147, v148
	;; [unrolled: 1-line block ×4, first 2 shown]
	v_add_f32_e32 v83, v83, v98
	v_add_f32_e32 v85, v85, v94
	;; [unrolled: 1-line block ×3, first 2 shown]
	v_mov_b32_e32 v91, v93
	v_add_f32_e32 v92, v92, v99
	v_mov_b32_e32 v94, v96
	v_mov_b32_e32 v95, v97
	;; [unrolled: 1-line block ×4, first 2 shown]
	v_fmac_f32_e32 v91, 0x3f4178ce, v149
	v_fmac_f32_e32 v93, 0xbf4178ce, v149
	;; [unrolled: 1-line block ×4, first 2 shown]
	v_fma_f32 v96, v147, s5, -v96
	v_fmac_f32_e32 v97, 0x3f68dda4, v149
	v_fmac_f32_e32 v98, 0xbe11bafb, v147
	;; [unrolled: 1-line block ×3, first 2 shown]
	v_fma_f32 v100, v147, s12, -v100
	v_fmac_f32_e32 v101, 0xbf7d64f0, v149
	v_add_f32_e32 v91, v91, v139
	v_add_f32_e32 v93, v93, v129
	;; [unrolled: 1-line block ×10, first 2 shown]
	s_waitcnt lgkmcnt(0)
	; wave barrier
	ds_write2_b64 v134, v[78:79], v[82:83] offset1:1
	ds_write2_b64 v134, v[86:87], v[90:91] offset0:2 offset1:3
	ds_write2_b64 v134, v[94:95], v[98:99] offset0:4 offset1:5
	ds_write2_b64 v134, v[100:101], v[96:97] offset0:6 offset1:7
	ds_write2_b64 v134, v[92:93], v[88:89] offset0:8 offset1:9
	ds_write_b64 v134, v[84:85] offset:80
	s_and_saveexec_b64 s[2:3], s[0:1]
	s_cbranch_execz .LBB0_13
; %bb.12:
	v_add_f32_e32 v88, v128, v81
	v_mul_f32_e32 v90, 0xbf75a155, v88
	v_add_f32_e32 v89, v3, v73
	v_sub_f32_e32 v91, v80, v127
	v_mov_b32_e32 v78, v90
	v_mul_f32_e32 v92, 0x3f575c64, v89
	v_fmac_f32_e32 v78, 0x3e903f40, v91
	v_sub_f32_e32 v93, v72, v2
	v_mov_b32_e32 v79, v92
	v_add_f32_e32 v94, v1, v77
	v_add_f32_e32 v78, v75, v78
	v_fmac_f32_e32 v79, 0xbf0a6770, v93
	v_mul_f32_e32 v95, 0xbf27a4f4, v94
	v_add_f32_e32 v78, v79, v78
	v_sub_f32_e32 v96, v76, v0
	v_mov_b32_e32 v79, v95
	v_add_f32_e32 v97, v11, v5
	v_fmac_f32_e32 v79, 0x3f4178ce, v96
	v_mul_f32_e32 v98, 0x3ed4b147, v97
	v_add_f32_e32 v78, v79, v78
	v_sub_f32_e32 v99, v4, v10
	v_mov_b32_e32 v79, v98
	v_add_f32_e32 v100, v9, v7
	v_fmac_f32_e32 v79, 0xbf68dda4, v99
	v_mul_f32_e32 v101, 0xbe11bafb, v100
	v_add_f32_e32 v78, v79, v78
	v_sub_f32_e32 v129, v6, v8
	v_mov_b32_e32 v79, v101
	v_sub_f32_e32 v134, v81, v128
	v_fmac_f32_e32 v79, 0x3f7d64f0, v129
	v_mul_f32_e32 v139, 0xbe903f40, v134
	v_sub_f32_e32 v141, v73, v3
	v_add_f32_e32 v79, v79, v78
	v_add_f32_e32 v130, v127, v80
	v_mov_b32_e32 v78, v139
	v_mul_f32_e32 v142, 0x3f0a6770, v141
	v_fmac_f32_e32 v78, 0xbf75a155, v130
	v_add_f32_e32 v140, v2, v72
	v_mov_b32_e32 v82, v142
	v_sub_f32_e32 v144, v77, v1
	v_add_f32_e32 v78, v74, v78
	v_fmac_f32_e32 v82, 0x3f575c64, v140
	v_mul_f32_e32 v145, 0xbf4178ce, v144
	v_add_f32_e32 v78, v82, v78
	v_add_f32_e32 v143, v0, v76
	v_mov_b32_e32 v82, v145
	v_sub_f32_e32 v147, v5, v11
	v_fmac_f32_e32 v82, 0xbf27a4f4, v143
	v_mul_f32_e32 v148, 0x3f68dda4, v147
	v_add_f32_e32 v78, v82, v78
	v_add_f32_e32 v146, v10, v4
	v_mov_b32_e32 v82, v148
	v_sub_f32_e32 v150, v7, v9
	v_fmac_f32_e32 v82, 0x3ed4b147, v146
	v_mul_f32_e32 v151, 0xbf7d64f0, v150
	v_add_f32_e32 v78, v82, v78
	v_add_f32_e32 v149, v8, v6
	v_mov_b32_e32 v82, v151
	v_fmac_f32_e32 v82, 0xbe11bafb, v149
	v_mul_f32_e32 v152, 0xbf27a4f4, v88
	v_add_f32_e32 v78, v82, v78
	v_mov_b32_e32 v82, v152
	v_mul_f32_e32 v153, 0xbe11bafb, v89
	v_fmac_f32_e32 v82, 0x3f4178ce, v91
	v_mov_b32_e32 v83, v153
	v_add_f32_e32 v82, v75, v82
	v_fmac_f32_e32 v83, 0xbf7d64f0, v93
	v_mul_f32_e32 v154, 0x3f575c64, v94
	v_add_f32_e32 v82, v83, v82
	v_mov_b32_e32 v83, v154
	v_fmac_f32_e32 v83, 0x3f0a6770, v96
	v_mul_f32_e32 v155, 0xbf75a155, v97
	v_add_f32_e32 v82, v83, v82
	v_mov_b32_e32 v83, v155
	;; [unrolled: 4-line block ×4, first 2 shown]
	v_mul_f32_e32 v158, 0x3f7d64f0, v141
	v_fmac_f32_e32 v82, 0xbf27a4f4, v130
	v_mov_b32_e32 v84, v158
	v_add_f32_e32 v82, v74, v82
	v_fmac_f32_e32 v84, 0xbe11bafb, v140
	v_mul_f32_e32 v159, 0xbf0a6770, v144
	v_add_f32_e32 v82, v84, v82
	v_mov_b32_e32 v84, v159
	v_fmac_f32_e32 v84, 0x3f575c64, v143
	v_mul_f32_e32 v160, 0xbe903f40, v147
	v_add_f32_e32 v82, v84, v82
	v_mov_b32_e32 v84, v160
	v_fmac_f32_e32 v84, 0xbf75a155, v146
	v_mul_f32_e32 v161, 0x3f68dda4, v150
	v_add_f32_e32 v81, v81, v75
	v_add_f32_e32 v82, v84, v82
	v_mov_b32_e32 v84, v161
	v_add_f32_e32 v73, v73, v81
	v_fmac_f32_e32 v84, 0x3ed4b147, v149
	v_mul_f32_e32 v162, 0xbe11bafb, v88
	v_add_f32_e32 v73, v77, v73
	v_add_f32_e32 v82, v84, v82
	v_mov_b32_e32 v84, v162
	v_mul_f32_e32 v163, 0xbf75a155, v89
	v_add_f32_e32 v5, v5, v73
	v_fmac_f32_e32 v84, 0x3f7d64f0, v91
	v_mov_b32_e32 v85, v163
	v_add_f32_e32 v5, v7, v5
	v_add_f32_e32 v84, v75, v84
	v_fmac_f32_e32 v85, 0xbe903f40, v93
	v_mul_f32_e32 v164, 0x3ed4b147, v94
	v_add_f32_e32 v5, v9, v5
	v_add_f32_e32 v84, v85, v84
	v_mov_b32_e32 v85, v164
	v_add_f32_e32 v5, v11, v5
	v_fmac_f32_e32 v85, 0xbf68dda4, v96
	v_mul_f32_e32 v165, 0x3f575c64, v97
	v_add_f32_e32 v1, v1, v5
	v_add_f32_e32 v84, v85, v84
	v_mov_b32_e32 v85, v165
	v_add_f32_e32 v1, v3, v1
	v_add_f32_e32 v3, v80, v74
	v_fmac_f32_e32 v85, 0x3f0a6770, v99
	v_mul_f32_e32 v166, 0xbf27a4f4, v100
	v_add_f32_e32 v3, v72, v3
	v_add_f32_e32 v84, v85, v84
	v_mov_b32_e32 v85, v166
	v_add_f32_e32 v3, v76, v3
	v_fmac_f32_e32 v85, 0x3f4178ce, v129
	v_mul_f32_e32 v167, 0xbf7d64f0, v134
	v_add_f32_e32 v3, v4, v3
	v_add_f32_e32 v85, v85, v84
	v_mov_b32_e32 v84, v167
	v_mul_f32_e32 v168, 0x3e903f40, v141
	v_add_f32_e32 v3, v6, v3
	v_fmac_f32_e32 v84, 0xbe11bafb, v130
	v_mov_b32_e32 v86, v168
	v_add_f32_e32 v3, v8, v3
	v_add_f32_e32 v84, v74, v84
	v_fmac_f32_e32 v86, 0xbf75a155, v140
	v_mul_f32_e32 v169, 0x3f68dda4, v144
	v_add_f32_e32 v3, v10, v3
	v_add_f32_e32 v84, v86, v84
	v_mov_b32_e32 v86, v169
	v_add_f32_e32 v0, v0, v3
	v_fmac_f32_e32 v90, 0xbe903f40, v91
	v_fmac_f32_e32 v86, 0x3ed4b147, v143
	v_mul_f32_e32 v170, 0xbf0a6770, v147
	v_add_f32_e32 v0, v2, v0
	v_add_f32_e32 v2, v75, v90
	v_fmac_f32_e32 v92, 0x3f0a6770, v93
	v_add_f32_e32 v84, v86, v84
	v_mov_b32_e32 v86, v170
	v_add_f32_e32 v2, v92, v2
	v_fmac_f32_e32 v95, 0xbf4178ce, v96
	v_fmac_f32_e32 v86, 0x3f575c64, v146
	v_mul_f32_e32 v171, 0xbf4178ce, v150
	v_add_f32_e32 v2, v95, v2
	v_fmac_f32_e32 v98, 0x3f68dda4, v99
	v_add_f32_e32 v84, v86, v84
	v_mov_b32_e32 v86, v171
	v_add_f32_e32 v2, v98, v2
	v_fmac_f32_e32 v101, 0xbf7d64f0, v129
	v_fmac_f32_e32 v86, 0xbf27a4f4, v149
	v_mul_f32_e32 v172, 0x3ed4b147, v88
	v_add_f32_e32 v3, v101, v2
	v_fma_f32 v2, v130, s14, -v139
	v_add_f32_e32 v84, v86, v84
	v_mov_b32_e32 v86, v172
	v_mul_f32_e32 v173, 0xbf27a4f4, v89
	v_add_f32_e32 v2, v74, v2
	v_fma_f32 v4, v140, s4, -v142
	v_fmac_f32_e32 v86, 0x3f68dda4, v91
	v_mov_b32_e32 v87, v173
	v_add_f32_e32 v2, v4, v2
	v_fma_f32 v4, v143, s13, -v145
	v_add_f32_e32 v86, v75, v86
	v_fmac_f32_e32 v87, 0x3f4178ce, v93
	v_mul_f32_e32 v174, 0xbf75a155, v94
	v_add_f32_e32 v2, v4, v2
	v_fma_f32 v4, v146, s5, -v148
	v_add_f32_e32 v86, v87, v86
	v_mov_b32_e32 v87, v174
	v_add_f32_e32 v2, v4, v2
	v_fma_f32 v4, v149, s12, -v151
	v_fmac_f32_e32 v152, 0xbf4178ce, v91
	v_fmac_f32_e32 v87, 0xbe903f40, v96
	v_mul_f32_e32 v175, 0xbe11bafb, v97
	v_add_f32_e32 v2, v4, v2
	v_add_f32_e32 v4, v75, v152
	v_fmac_f32_e32 v153, 0x3f7d64f0, v93
	v_add_f32_e32 v86, v87, v86
	v_mov_b32_e32 v87, v175
	v_add_f32_e32 v4, v153, v4
	v_fmac_f32_e32 v154, 0xbf0a6770, v96
	v_fmac_f32_e32 v87, 0xbf7d64f0, v99
	v_mul_f32_e32 v176, 0x3f575c64, v100
	v_add_f32_e32 v4, v154, v4
	v_fmac_f32_e32 v155, 0xbe903f40, v99
	v_add_f32_e32 v86, v87, v86
	v_mov_b32_e32 v87, v176
	v_add_f32_e32 v4, v155, v4
	v_fmac_f32_e32 v156, 0x3f68dda4, v129
	v_fmac_f32_e32 v87, 0xbf0a6770, v129
	v_mul_f32_e32 v177, 0xbf68dda4, v134
	v_add_f32_e32 v5, v156, v4
	v_fma_f32 v4, v130, s13, -v157
	v_add_f32_e32 v87, v87, v86
	v_mov_b32_e32 v86, v177
	v_mul_f32_e32 v178, 0xbf4178ce, v141
	v_add_f32_e32 v4, v74, v4
	v_fma_f32 v6, v140, s12, -v158
	v_fmac_f32_e32 v86, 0x3ed4b147, v130
	v_mov_b32_e32 v179, v178
	v_add_f32_e32 v4, v6, v4
	v_fma_f32 v6, v143, s4, -v159
	v_add_f32_e32 v86, v74, v86
	v_fmac_f32_e32 v179, 0xbf27a4f4, v140
	v_add_f32_e32 v4, v6, v4
	v_fma_f32 v6, v146, s14, -v160
	v_add_f32_e32 v86, v179, v86
	v_mul_f32_e32 v179, 0x3e903f40, v144
	v_add_f32_e32 v4, v6, v4
	v_fma_f32 v6, v149, s5, -v161
	v_fmac_f32_e32 v162, 0xbf7d64f0, v91
	v_mov_b32_e32 v180, v179
	v_add_f32_e32 v4, v6, v4
	v_add_f32_e32 v6, v75, v162
	v_fmac_f32_e32 v163, 0x3e903f40, v93
	v_fmac_f32_e32 v180, 0xbf75a155, v143
	v_add_f32_e32 v6, v163, v6
	v_fmac_f32_e32 v164, 0x3f68dda4, v96
	v_add_f32_e32 v86, v180, v86
	v_mul_f32_e32 v180, 0x3f7d64f0, v147
	v_add_f32_e32 v6, v164, v6
	v_fmac_f32_e32 v165, 0xbf0a6770, v99
	v_mov_b32_e32 v181, v180
	v_add_f32_e32 v6, v165, v6
	v_fmac_f32_e32 v166, 0xbf4178ce, v129
	v_fmac_f32_e32 v181, 0xbe11bafb, v146
	v_add_f32_e32 v7, v166, v6
	v_fma_f32 v6, v130, s12, -v167
	v_add_f32_e32 v86, v181, v86
	v_mul_f32_e32 v181, 0x3f0a6770, v150
	v_add_f32_e32 v6, v74, v6
	v_fma_f32 v8, v140, s14, -v168
	v_mov_b32_e32 v182, v181
	v_add_f32_e32 v6, v8, v6
	v_fma_f32 v8, v143, s5, -v169
	v_fmac_f32_e32 v182, 0x3f575c64, v149
	v_add_f32_e32 v6, v8, v6
	v_fma_f32 v8, v146, s4, -v170
	v_add_f32_e32 v86, v182, v86
	v_mul_f32_e32 v182, 0x3f575c64, v88
	v_add_f32_e32 v6, v8, v6
	v_fma_f32 v8, v149, s13, -v171
	v_fmac_f32_e32 v172, 0xbf68dda4, v91
	v_mov_b32_e32 v88, v182
	v_mul_f32_e32 v183, 0x3ed4b147, v89
	v_add_f32_e32 v6, v8, v6
	v_add_f32_e32 v8, v75, v172
	v_fmac_f32_e32 v173, 0xbf4178ce, v93
	v_fmac_f32_e32 v88, 0x3f0a6770, v91
	v_mov_b32_e32 v89, v183
	v_add_f32_e32 v8, v173, v8
	v_fmac_f32_e32 v174, 0x3e903f40, v96
	v_add_f32_e32 v88, v75, v88
	v_fmac_f32_e32 v89, 0x3f68dda4, v93
	v_mul_f32_e32 v94, 0xbe11bafb, v94
	v_add_f32_e32 v8, v174, v8
	v_fmac_f32_e32 v175, 0x3f7d64f0, v99
	v_add_f32_e32 v88, v89, v88
	v_mov_b32_e32 v89, v94
	v_add_f32_e32 v8, v175, v8
	v_fmac_f32_e32 v176, 0x3f0a6770, v129
	v_fmac_f32_e32 v89, 0x3f7d64f0, v96
	v_mul_f32_e32 v97, 0xbf27a4f4, v97
	v_add_f32_e32 v9, v176, v8
	v_fma_f32 v8, v130, s5, -v177
	v_add_f32_e32 v88, v89, v88
	v_mov_b32_e32 v89, v97
	v_add_f32_e32 v8, v74, v8
	v_fma_f32 v10, v140, s13, -v178
	v_fmac_f32_e32 v89, 0x3f4178ce, v99
	v_mul_f32_e32 v100, 0xbf75a155, v100
	v_add_f32_e32 v8, v10, v8
	v_fma_f32 v10, v143, s14, -v179
	v_add_f32_e32 v88, v89, v88
	v_mov_b32_e32 v89, v100
	v_add_f32_e32 v8, v10, v8
	v_fma_f32 v10, v146, s12, -v180
	v_fmac_f32_e32 v89, 0x3e903f40, v129
	v_mul_f32_e32 v134, 0xbf0a6770, v134
	v_add_f32_e32 v8, v10, v8
	v_fma_f32 v10, v149, s4, -v181
	v_fmac_f32_e32 v182, 0xbf0a6770, v91
	v_add_f32_e32 v89, v89, v88
	v_mov_b32_e32 v88, v134
	v_mul_f32_e32 v141, 0xbf68dda4, v141
	v_add_f32_e32 v8, v10, v8
	v_add_f32_e32 v10, v75, v182
	v_fmac_f32_e32 v183, 0xbf68dda4, v93
	v_fmac_f32_e32 v88, 0x3f575c64, v130
	v_mov_b32_e32 v184, v141
	v_add_f32_e32 v10, v183, v10
	v_fmac_f32_e32 v94, 0xbf7d64f0, v96
	v_add_f32_e32 v88, v74, v88
	v_fmac_f32_e32 v184, 0x3ed4b147, v140
	v_mul_f32_e32 v144, 0xbf7d64f0, v144
	v_add_f32_e32 v10, v94, v10
	v_fmac_f32_e32 v97, 0xbf4178ce, v99
	v_add_f32_e32 v88, v184, v88
	v_mov_b32_e32 v184, v144
	v_add_f32_e32 v10, v97, v10
	v_fmac_f32_e32 v100, 0xbe903f40, v129
	v_fmac_f32_e32 v184, 0xbe11bafb, v143
	v_mul_f32_e32 v147, 0xbf4178ce, v147
	v_add_f32_e32 v11, v100, v10
	v_fma_f32 v10, v130, s4, -v134
	v_add_f32_e32 v88, v184, v88
	v_mov_b32_e32 v184, v147
	v_add_f32_e32 v10, v74, v10
	v_fma_f32 v72, v140, s5, -v141
	v_fmac_f32_e32 v184, 0xbf27a4f4, v146
	v_mul_f32_e32 v150, 0xbe903f40, v150
	v_add_f32_e32 v10, v72, v10
	v_fma_f32 v72, v143, s12, -v144
	v_add_f32_e32 v88, v184, v88
	v_mov_b32_e32 v184, v150
	v_add_f32_e32 v10, v72, v10
	v_fma_f32 v72, v146, s13, -v147
	v_fmac_f32_e32 v184, 0xbf75a155, v149
	v_add_f32_e32 v10, v72, v10
	v_fma_f32 v72, v149, s14, -v150
	v_add_f32_e32 v88, v184, v88
	v_add_f32_e32 v1, v128, v1
	v_add_f32_e32 v0, v127, v0
	v_add_f32_e32 v10, v72, v10
	v_lshlrev_b32_e32 v72, 3, v133
	ds_write2_b64 v72, v[0:1], v[88:89] offset1:1
	ds_write2_b64 v72, v[86:87], v[84:85] offset0:2 offset1:3
	ds_write2_b64 v72, v[82:83], v[78:79] offset0:4 offset1:5
	ds_write2_b64 v72, v[2:3], v[4:5] offset0:6 offset1:7
	ds_write2_b64 v72, v[6:7], v[8:9] offset0:8 offset1:9
	ds_write_b64 v72, v[10:11] offset:80
.LBB0_13:
	s_or_b64 exec, exec, s[2:3]
	s_waitcnt lgkmcnt(0)
	; wave barrier
	s_waitcnt lgkmcnt(0)
	ds_read2_b64 v[5:8], v131 offset1:55
	ds_read2_b64 v[72:75], v131 offset0:110 offset1:165
	v_add_u32_e32 v3, 0x800, v131
	ds_read2_b64 v[76:79], v3 offset0:74 offset1:129
	ds_read2_b64 v[80:83], v3 offset0:184 offset1:239
	v_add_u32_e32 v2, 0x1000, v131
	ds_read2_b64 v[84:87], v2 offset0:148 offset1:203
	v_add_u32_e32 v4, 0x400, v131
	s_waitcnt lgkmcnt(3)
	v_mul_f32_e32 v96, v17, v75
	v_mul_f32_e32 v11, v17, v74
	ds_read2_b64 v[88:91], v4 offset0:92 offset1:147
	ds_read2_b64 v[92:95], v2 offset0:38 offset1:93
	ds_read_b64 v[9:10], v131 offset:6160
	v_fmac_f32_e32 v96, v16, v74
	v_fma_f32 v17, v16, v75, -v11
	s_waitcnt lgkmcnt(5)
	v_mul_f32_e32 v16, v19, v77
	v_mul_f32_e32 v11, v19, v76
	v_fmac_f32_e32 v16, v18, v76
	v_fma_f32 v18, v18, v77, -v11
	s_waitcnt lgkmcnt(4)
	v_mul_f32_e32 v11, v13, v82
	v_fma_f32 v74, v12, v83, -v11
	s_waitcnt lgkmcnt(3)
	v_mul_f32_e32 v11, v15, v84
	v_fma_f32 v76, v14, v85, -v11
	s_waitcnt lgkmcnt(2)
	v_mul_f32_e32 v77, v25, v89
	v_mul_f32_e32 v11, v25, v88
	v_fmac_f32_e32 v77, v24, v88
	v_fma_f32 v25, v24, v89, -v11
	v_mul_f32_e32 v24, v27, v79
	v_mul_f32_e32 v11, v27, v78
	v_fmac_f32_e32 v24, v26, v78
	v_fma_f32 v26, v26, v79, -v11
	s_waitcnt lgkmcnt(1)
	v_mul_f32_e32 v11, v21, v92
	v_mul_f32_e32 v19, v13, v83
	v_fma_f32 v78, v20, v93, -v11
	v_mul_f32_e32 v11, v23, v86
	v_fmac_f32_e32 v19, v12, v82
	v_fma_f32 v82, v22, v87, -v11
	v_mul_f32_e32 v83, v33, v91
	v_mul_f32_e32 v11, v33, v90
	v_fmac_f32_e32 v83, v32, v90
	v_fma_f32 v33, v32, v91, -v11
	v_mul_f32_e32 v32, v35, v81
	v_mul_f32_e32 v11, v35, v80
	v_fmac_f32_e32 v32, v34, v80
	v_fma_f32 v34, v34, v81, -v11
	s_waitcnt lgkmcnt(0)
	v_mul_f32_e32 v81, v31, v10
	v_mul_f32_e32 v75, v15, v85
	v_fmac_f32_e32 v81, v30, v9
	v_mul_f32_e32 v9, v31, v9
	v_fmac_f32_e32 v75, v14, v84
	v_mul_f32_e32 v11, v29, v94
	v_fma_f32 v84, v30, v10, -v9
	v_add_f32_e32 v10, v16, v19
	v_fma_f32 v80, v28, v95, -v11
	v_fma_f32 v11, -0.5, v10, v5
	v_sub_f32_e32 v10, v17, v76
	v_mov_b32_e32 v13, v11
	v_fmac_f32_e32 v13, 0xbf737871, v10
	v_sub_f32_e32 v12, v18, v74
	v_sub_f32_e32 v14, v96, v16
	;; [unrolled: 1-line block ×3, first 2 shown]
	v_fmac_f32_e32 v11, 0x3f737871, v10
	v_fmac_f32_e32 v13, 0xbf167918, v12
	v_add_f32_e32 v14, v14, v15
	v_fmac_f32_e32 v11, 0x3f167918, v12
	v_fmac_f32_e32 v13, 0x3e9e377a, v14
	;; [unrolled: 1-line block ×3, first 2 shown]
	v_add_f32_e32 v14, v96, v75
	v_add_f32_e32 v9, v5, v96
	v_fma_f32 v5, -0.5, v14, v5
	v_mul_f32_e32 v27, v21, v93
	v_mov_b32_e32 v15, v5
	v_fmac_f32_e32 v27, v20, v92
	v_fmac_f32_e32 v15, 0x3f737871, v12
	v_sub_f32_e32 v14, v16, v96
	v_sub_f32_e32 v20, v19, v75
	v_fmac_f32_e32 v5, 0xbf737871, v12
	v_add_f32_e32 v12, v18, v74
	v_fmac_f32_e32 v15, 0xbf167918, v10
	v_add_f32_e32 v14, v14, v20
	v_fmac_f32_e32 v5, 0x3f167918, v10
	v_fma_f32 v12, -0.5, v12, v6
	v_add_f32_e32 v9, v9, v16
	v_fmac_f32_e32 v15, 0x3e9e377a, v14
	v_fmac_f32_e32 v5, 0x3e9e377a, v14
	v_sub_f32_e32 v20, v96, v75
	v_mov_b32_e32 v14, v12
	v_add_f32_e32 v9, v9, v19
	v_fmac_f32_e32 v14, 0x3f737871, v20
	v_sub_f32_e32 v19, v16, v19
	v_sub_f32_e32 v16, v17, v18
	;; [unrolled: 1-line block ×3, first 2 shown]
	v_fmac_f32_e32 v12, 0xbf737871, v20
	v_fmac_f32_e32 v14, 0x3f167918, v19
	v_add_f32_e32 v16, v16, v21
	v_fmac_f32_e32 v12, 0xbf167918, v19
	v_add_f32_e32 v10, v6, v17
	v_fmac_f32_e32 v14, 0x3e9e377a, v16
	v_fmac_f32_e32 v12, 0x3e9e377a, v16
	v_add_f32_e32 v16, v17, v76
	v_add_f32_e32 v10, v10, v18
	v_fma_f32 v6, -0.5, v16, v6
	v_sub_f32_e32 v17, v18, v17
	v_sub_f32_e32 v18, v74, v76
	v_mov_b32_e32 v16, v6
	v_add_f32_e32 v17, v17, v18
	v_add_f32_e32 v18, v24, v27
	v_mul_f32_e32 v79, v23, v87
	v_fmac_f32_e32 v16, 0xbf737871, v19
	v_fmac_f32_e32 v6, 0x3f737871, v19
	v_fma_f32 v19, -0.5, v18, v7
	v_fmac_f32_e32 v79, v22, v86
	v_sub_f32_e32 v18, v25, v82
	v_mov_b32_e32 v21, v19
	v_fmac_f32_e32 v16, 0x3f167918, v20
	v_fmac_f32_e32 v6, 0xbf167918, v20
	;; [unrolled: 1-line block ×3, first 2 shown]
	v_sub_f32_e32 v20, v26, v78
	v_sub_f32_e32 v22, v77, v24
	v_sub_f32_e32 v23, v79, v27
	v_fmac_f32_e32 v19, 0x3f737871, v18
	v_fmac_f32_e32 v21, 0xbf167918, v20
	v_add_f32_e32 v22, v22, v23
	v_fmac_f32_e32 v19, 0x3f167918, v20
	v_fmac_f32_e32 v21, 0x3e9e377a, v22
	;; [unrolled: 1-line block ×3, first 2 shown]
	v_add_f32_e32 v22, v77, v79
	v_fmac_f32_e32 v16, 0x3e9e377a, v17
	v_fmac_f32_e32 v6, 0x3e9e377a, v17
	v_add_f32_e32 v17, v7, v77
	v_fma_f32 v7, -0.5, v22, v7
	v_mul_f32_e32 v35, v29, v95
	v_mov_b32_e32 v23, v7
	v_fmac_f32_e32 v35, v28, v94
	v_fmac_f32_e32 v23, 0x3f737871, v20
	v_sub_f32_e32 v22, v24, v77
	v_sub_f32_e32 v28, v27, v79
	v_fmac_f32_e32 v7, 0xbf737871, v20
	v_add_f32_e32 v20, v26, v78
	v_fmac_f32_e32 v23, 0xbf167918, v18
	v_add_f32_e32 v22, v22, v28
	v_fmac_f32_e32 v7, 0x3f167918, v18
	v_fma_f32 v20, -0.5, v20, v8
	v_add_f32_e32 v17, v17, v24
	v_fmac_f32_e32 v23, 0x3e9e377a, v22
	v_fmac_f32_e32 v7, 0x3e9e377a, v22
	v_sub_f32_e32 v28, v77, v79
	v_mov_b32_e32 v22, v20
	v_add_f32_e32 v17, v17, v27
	v_fmac_f32_e32 v22, 0x3f737871, v28
	v_sub_f32_e32 v27, v24, v27
	v_sub_f32_e32 v24, v25, v26
	;; [unrolled: 1-line block ×3, first 2 shown]
	v_fmac_f32_e32 v20, 0xbf737871, v28
	v_fmac_f32_e32 v22, 0x3f167918, v27
	v_add_f32_e32 v24, v24, v29
	v_fmac_f32_e32 v20, 0xbf167918, v27
	v_add_f32_e32 v18, v8, v25
	v_fmac_f32_e32 v22, 0x3e9e377a, v24
	v_fmac_f32_e32 v20, 0x3e9e377a, v24
	v_add_f32_e32 v24, v25, v82
	v_add_f32_e32 v18, v18, v26
	v_fmac_f32_e32 v8, -0.5, v24
	v_sub_f32_e32 v25, v26, v25
	v_sub_f32_e32 v26, v78, v82
	v_mov_b32_e32 v24, v8
	v_add_f32_e32 v25, v25, v26
	v_add_f32_e32 v26, v32, v35
	v_fmac_f32_e32 v24, 0xbf737871, v27
	v_fmac_f32_e32 v8, 0x3f737871, v27
	v_fma_f32 v27, -0.5, v26, v72
	v_sub_f32_e32 v26, v33, v84
	v_mov_b32_e32 v29, v27
	v_fmac_f32_e32 v24, 0x3f167918, v28
	v_fmac_f32_e32 v8, 0xbf167918, v28
	v_fmac_f32_e32 v29, 0xbf737871, v26
	v_sub_f32_e32 v28, v34, v80
	v_sub_f32_e32 v30, v83, v32
	;; [unrolled: 1-line block ×3, first 2 shown]
	v_fmac_f32_e32 v27, 0x3f737871, v26
	v_fmac_f32_e32 v29, 0xbf167918, v28
	v_add_f32_e32 v30, v30, v31
	v_fmac_f32_e32 v27, 0x3f167918, v28
	v_fmac_f32_e32 v29, 0x3e9e377a, v30
	v_fmac_f32_e32 v27, 0x3e9e377a, v30
	v_add_f32_e32 v30, v83, v81
	v_fmac_f32_e32 v24, 0x3e9e377a, v25
	v_fmac_f32_e32 v8, 0x3e9e377a, v25
	v_add_f32_e32 v25, v72, v83
	v_fma_f32 v72, -0.5, v30, v72
	v_mov_b32_e32 v31, v72
	v_add_f32_e32 v10, v10, v74
	v_fmac_f32_e32 v31, 0x3f737871, v28
	v_sub_f32_e32 v30, v32, v83
	v_sub_f32_e32 v74, v35, v81
	v_fmac_f32_e32 v72, 0xbf737871, v28
	v_add_f32_e32 v28, v34, v80
	v_fmac_f32_e32 v31, 0xbf167918, v26
	v_add_f32_e32 v30, v30, v74
	v_fmac_f32_e32 v72, 0x3f167918, v26
	v_fma_f32 v28, -0.5, v28, v73
	v_add_f32_e32 v25, v25, v32
	v_fmac_f32_e32 v31, 0x3e9e377a, v30
	v_fmac_f32_e32 v72, 0x3e9e377a, v30
	v_sub_f32_e32 v74, v83, v81
	v_mov_b32_e32 v30, v28
	v_add_f32_e32 v9, v9, v75
	v_add_f32_e32 v25, v25, v35
	v_fmac_f32_e32 v30, 0x3f737871, v74
	v_sub_f32_e32 v35, v32, v35
	v_sub_f32_e32 v32, v33, v34
	;; [unrolled: 1-line block ×3, first 2 shown]
	v_fmac_f32_e32 v28, 0xbf737871, v74
	v_fmac_f32_e32 v30, 0x3f167918, v35
	v_add_f32_e32 v32, v32, v75
	v_fmac_f32_e32 v28, 0xbf167918, v35
	v_fmac_f32_e32 v30, 0x3e9e377a, v32
	;; [unrolled: 1-line block ×3, first 2 shown]
	v_add_f32_e32 v32, v33, v84
	v_add_f32_e32 v26, v73, v33
	v_fmac_f32_e32 v73, -0.5, v32
	v_mov_b32_e32 v32, v73
	v_add_f32_e32 v26, v26, v34
	v_fmac_f32_e32 v32, 0xbf737871, v35
	v_sub_f32_e32 v33, v34, v33
	v_sub_f32_e32 v34, v80, v84
	v_add_f32_e32 v18, v18, v78
	v_add_f32_e32 v26, v26, v80
	v_fmac_f32_e32 v32, 0x3f167918, v74
	v_add_f32_e32 v33, v33, v34
	v_fmac_f32_e32 v73, 0x3f737871, v35
	v_add_f32_e32 v10, v10, v76
	v_add_f32_e32 v17, v17, v79
	;; [unrolled: 1-line block ×5, first 2 shown]
	v_fmac_f32_e32 v32, 0x3e9e377a, v33
	v_fmac_f32_e32 v73, 0xbf167918, v74
	;; [unrolled: 1-line block ×3, first 2 shown]
	s_waitcnt lgkmcnt(0)
	; wave barrier
	ds_write2_b64 v135, v[9:10], v[13:14] offset1:11
	ds_write2_b64 v135, v[15:16], v[5:6] offset0:22 offset1:33
	ds_write_b64 v135, v[11:12] offset:352
	ds_write2_b64 v136, v[17:18], v[21:22] offset1:11
	ds_write2_b64 v136, v[23:24], v[7:8] offset0:22 offset1:33
	ds_write_b64 v136, v[19:20] offset:352
	;; [unrolled: 3-line block ×3, first 2 shown]
	s_waitcnt lgkmcnt(0)
	; wave barrier
	s_waitcnt lgkmcnt(0)
	ds_read2_b64 v[5:8], v131 offset1:55
	ds_read2_b64 v[9:12], v131 offset0:110 offset1:165
	ds_read2_b64 v[13:16], v3 offset0:74 offset1:129
	;; [unrolled: 1-line block ×6, first 2 shown]
	ds_read_b64 v[33:34], v131 offset:6160
	s_waitcnt lgkmcnt(6)
	v_mul_f32_e32 v35, v41, v12
	v_fmac_f32_e32 v35, v40, v11
	v_mul_f32_e32 v11, v41, v11
	v_fma_f32 v72, v40, v12, -v11
	s_waitcnt lgkmcnt(5)
	v_mul_f32_e32 v11, v43, v13
	v_fma_f32 v74, v42, v14, -v11
	s_waitcnt lgkmcnt(4)
	v_mul_f32_e32 v75, v37, v20
	v_mul_f32_e32 v11, v37, v19
	v_fmac_f32_e32 v75, v36, v19
	v_fma_f32 v19, v36, v20, -v11
	s_waitcnt lgkmcnt(3)
	v_mul_f32_e32 v20, v39, v22
	v_mul_f32_e32 v11, v39, v21
	;; [unrolled: 1-line block ×3, first 2 shown]
	v_fmac_f32_e32 v20, v38, v21
	v_fma_f32 v21, v38, v22, -v11
	s_waitcnt lgkmcnt(2)
	v_mul_f32_e32 v76, v41, v26
	v_mul_f32_e32 v11, v41, v25
	v_fmac_f32_e32 v73, v42, v13
	v_fmac_f32_e32 v76, v40, v25
	v_fma_f32 v40, v40, v26, -v11
	v_mul_f32_e32 v26, v43, v16
	v_mul_f32_e32 v11, v43, v15
	v_fmac_f32_e32 v26, v42, v15
	v_fma_f32 v41, v42, v16, -v11
	s_waitcnt lgkmcnt(1)
	v_mul_f32_e32 v42, v37, v30
	v_mul_f32_e32 v11, v37, v29
	v_add_f32_e32 v12, v73, v75
	v_fmac_f32_e32 v42, v36, v29
	v_fma_f32 v29, v36, v30, -v11
	v_mul_f32_e32 v11, v39, v23
	v_fma_f32 v13, -0.5, v12, v5
	v_mul_f32_e32 v30, v39, v24
	v_fma_f32 v36, v38, v24, -v11
	v_mul_f32_e32 v11, v49, v27
	v_mul_f32_e32 v39, v51, v18
	v_sub_f32_e32 v12, v72, v21
	v_mov_b32_e32 v15, v13
	v_fmac_f32_e32 v30, v38, v23
	v_mul_f32_e32 v37, v49, v28
	v_fma_f32 v38, v48, v28, -v11
	v_fmac_f32_e32 v39, v50, v17
	v_mul_f32_e32 v11, v51, v17
	v_fmac_f32_e32 v15, 0xbf737871, v12
	v_sub_f32_e32 v14, v74, v19
	v_sub_f32_e32 v16, v35, v73
	;; [unrolled: 1-line block ×3, first 2 shown]
	v_fmac_f32_e32 v13, 0x3f737871, v12
	v_fmac_f32_e32 v37, v48, v27
	v_fma_f32 v43, v50, v18, -v11
	v_mul_f32_e32 v48, v45, v32
	v_mul_f32_e32 v11, v45, v31
	v_fmac_f32_e32 v15, 0xbf167918, v14
	v_add_f32_e32 v16, v16, v17
	v_fmac_f32_e32 v13, 0x3f167918, v14
	v_fmac_f32_e32 v48, v44, v31
	v_fma_f32 v44, v44, v32, -v11
	s_waitcnt lgkmcnt(0)
	v_mul_f32_e32 v11, v47, v33
	v_fmac_f32_e32 v15, 0x3e9e377a, v16
	v_fmac_f32_e32 v13, 0x3e9e377a, v16
	v_add_f32_e32 v16, v35, v20
	v_fma_f32 v45, v46, v34, -v11
	v_add_f32_e32 v11, v5, v35
	v_fma_f32 v5, -0.5, v16, v5
	v_mov_b32_e32 v17, v5
	v_add_f32_e32 v11, v11, v73
	v_fmac_f32_e32 v17, 0x3f737871, v14
	v_sub_f32_e32 v16, v73, v35
	v_sub_f32_e32 v18, v75, v20
	v_fmac_f32_e32 v5, 0xbf737871, v14
	v_add_f32_e32 v14, v74, v19
	v_add_f32_e32 v11, v11, v75
	v_fmac_f32_e32 v17, 0xbf167918, v12
	v_add_f32_e32 v16, v16, v18
	v_fmac_f32_e32 v5, 0x3f167918, v12
	v_fma_f32 v14, -0.5, v14, v6
	v_add_f32_e32 v11, v11, v20
	v_fmac_f32_e32 v17, 0x3e9e377a, v16
	v_fmac_f32_e32 v5, 0x3e9e377a, v16
	v_sub_f32_e32 v20, v35, v20
	v_mov_b32_e32 v16, v14
	v_fmac_f32_e32 v16, 0x3f737871, v20
	v_sub_f32_e32 v22, v73, v75
	v_sub_f32_e32 v18, v72, v74
	;; [unrolled: 1-line block ×3, first 2 shown]
	v_fmac_f32_e32 v14, 0xbf737871, v20
	v_fmac_f32_e32 v16, 0x3f167918, v22
	v_add_f32_e32 v18, v18, v23
	v_fmac_f32_e32 v14, 0xbf167918, v22
	v_fmac_f32_e32 v16, 0x3e9e377a, v18
	;; [unrolled: 1-line block ×3, first 2 shown]
	v_add_f32_e32 v18, v72, v21
	v_add_f32_e32 v12, v6, v72
	v_fma_f32 v6, -0.5, v18, v6
	v_mov_b32_e32 v18, v6
	v_add_f32_e32 v12, v12, v74
	v_fmac_f32_e32 v18, 0xbf737871, v22
	v_fmac_f32_e32 v6, 0x3f737871, v22
	v_add_f32_e32 v12, v12, v19
	v_fmac_f32_e32 v18, 0x3f167918, v20
	v_fmac_f32_e32 v6, 0xbf167918, v20
	v_add_f32_e32 v20, v26, v42
	v_add_f32_e32 v12, v12, v21
	v_sub_f32_e32 v23, v74, v72
	v_sub_f32_e32 v19, v19, v21
	v_fma_f32 v21, -0.5, v20, v7
	v_add_f32_e32 v19, v23, v19
	v_sub_f32_e32 v20, v40, v36
	v_mov_b32_e32 v23, v21
	v_fmac_f32_e32 v23, 0xbf737871, v20
	v_sub_f32_e32 v22, v41, v29
	v_sub_f32_e32 v24, v76, v26
	;; [unrolled: 1-line block ×3, first 2 shown]
	v_fmac_f32_e32 v21, 0x3f737871, v20
	v_fmac_f32_e32 v23, 0xbf167918, v22
	v_add_f32_e32 v24, v24, v25
	v_fmac_f32_e32 v21, 0x3f167918, v22
	v_fmac_f32_e32 v23, 0x3e9e377a, v24
	;; [unrolled: 1-line block ×3, first 2 shown]
	v_add_f32_e32 v24, v76, v30
	v_fmac_f32_e32 v18, 0x3e9e377a, v19
	v_fmac_f32_e32 v6, 0x3e9e377a, v19
	v_add_f32_e32 v19, v7, v76
	v_fma_f32 v7, -0.5, v24, v7
	v_mov_b32_e32 v25, v7
	v_fmac_f32_e32 v25, 0x3f737871, v22
	v_sub_f32_e32 v24, v26, v76
	v_sub_f32_e32 v27, v42, v30
	v_fmac_f32_e32 v7, 0xbf737871, v22
	v_add_f32_e32 v22, v41, v29
	v_add_f32_e32 v19, v19, v26
	v_fmac_f32_e32 v25, 0xbf167918, v20
	v_add_f32_e32 v24, v24, v27
	v_fmac_f32_e32 v7, 0x3f167918, v20
	v_fma_f32 v22, -0.5, v22, v8
	v_add_f32_e32 v19, v19, v42
	v_fmac_f32_e32 v25, 0x3e9e377a, v24
	v_fmac_f32_e32 v7, 0x3e9e377a, v24
	v_sub_f32_e32 v27, v76, v30
	v_mov_b32_e32 v24, v22
	v_add_f32_e32 v19, v19, v30
	v_fmac_f32_e32 v24, 0x3f737871, v27
	v_sub_f32_e32 v28, v26, v42
	v_sub_f32_e32 v26, v40, v41
	;; [unrolled: 1-line block ×3, first 2 shown]
	v_fmac_f32_e32 v22, 0xbf737871, v27
	v_fmac_f32_e32 v24, 0x3f167918, v28
	v_add_f32_e32 v26, v26, v30
	v_fmac_f32_e32 v22, 0xbf167918, v28
	v_fmac_f32_e32 v24, 0x3e9e377a, v26
	;; [unrolled: 1-line block ×3, first 2 shown]
	v_add_f32_e32 v26, v40, v36
	v_add_f32_e32 v20, v8, v40
	v_fmac_f32_e32 v8, -0.5, v26
	v_add_f32_e32 v20, v20, v41
	v_mov_b32_e32 v26, v8
	v_add_f32_e32 v20, v20, v29
	v_fmac_f32_e32 v26, 0xbf737871, v28
	v_sub_f32_e32 v30, v41, v40
	v_sub_f32_e32 v29, v29, v36
	v_fmac_f32_e32 v8, 0x3f737871, v28
	v_fmac_f32_e32 v26, 0x3f167918, v27
	v_add_f32_e32 v29, v30, v29
	v_fmac_f32_e32 v8, 0xbf167918, v27
	v_add_f32_e32 v28, v39, v48
	v_mul_f32_e32 v32, v47, v34
	v_fmac_f32_e32 v26, 0x3e9e377a, v29
	v_fmac_f32_e32 v8, 0x3e9e377a, v29
	v_fma_f32 v29, -0.5, v28, v9
	v_fmac_f32_e32 v32, v46, v33
	v_sub_f32_e32 v28, v38, v45
	v_mov_b32_e32 v31, v29
	v_fmac_f32_e32 v31, 0xbf737871, v28
	v_sub_f32_e32 v30, v43, v44
	v_sub_f32_e32 v33, v37, v39
	;; [unrolled: 1-line block ×3, first 2 shown]
	v_fmac_f32_e32 v29, 0x3f737871, v28
	v_fmac_f32_e32 v31, 0xbf167918, v30
	v_add_f32_e32 v33, v33, v34
	v_fmac_f32_e32 v29, 0x3f167918, v30
	v_fmac_f32_e32 v31, 0x3e9e377a, v33
	;; [unrolled: 1-line block ×3, first 2 shown]
	v_add_f32_e32 v33, v37, v32
	v_add_f32_e32 v27, v9, v37
	v_fma_f32 v9, -0.5, v33, v9
	v_mov_b32_e32 v33, v9
	v_add_f32_e32 v27, v27, v39
	v_fmac_f32_e32 v33, 0x3f737871, v30
	v_fmac_f32_e32 v9, 0xbf737871, v30
	v_add_f32_e32 v30, v43, v44
	v_add_f32_e32 v27, v27, v48
	v_sub_f32_e32 v34, v39, v37
	v_sub_f32_e32 v35, v48, v32
	v_fma_f32 v30, -0.5, v30, v10
	v_add_f32_e32 v27, v27, v32
	v_fmac_f32_e32 v33, 0xbf167918, v28
	v_add_f32_e32 v34, v34, v35
	v_fmac_f32_e32 v9, 0x3f167918, v28
	v_sub_f32_e32 v35, v37, v32
	v_mov_b32_e32 v32, v30
	v_add_f32_e32 v20, v20, v36
	v_fmac_f32_e32 v33, 0x3e9e377a, v34
	v_fmac_f32_e32 v9, 0x3e9e377a, v34
	;; [unrolled: 1-line block ×3, first 2 shown]
	v_sub_f32_e32 v36, v39, v48
	v_sub_f32_e32 v34, v38, v43
	v_sub_f32_e32 v37, v45, v44
	v_fmac_f32_e32 v30, 0xbf737871, v35
	v_fmac_f32_e32 v32, 0x3f167918, v36
	v_add_f32_e32 v34, v34, v37
	v_fmac_f32_e32 v30, 0xbf167918, v36
	v_fmac_f32_e32 v32, 0x3e9e377a, v34
	;; [unrolled: 1-line block ×3, first 2 shown]
	v_add_f32_e32 v34, v38, v45
	v_add_f32_e32 v28, v10, v38
	v_fmac_f32_e32 v10, -0.5, v34
	v_mov_b32_e32 v34, v10
	v_add_f32_e32 v28, v28, v43
	v_fmac_f32_e32 v34, 0xbf737871, v36
	v_sub_f32_e32 v37, v43, v38
	v_sub_f32_e32 v38, v44, v45
	v_fmac_f32_e32 v10, 0x3f737871, v36
	v_add_f32_e32 v28, v28, v44
	v_fmac_f32_e32 v34, 0x3f167918, v35
	v_add_f32_e32 v37, v37, v38
	;; [unrolled: 2-line block ×3, first 2 shown]
	v_fmac_f32_e32 v34, 0x3e9e377a, v37
	v_fmac_f32_e32 v10, 0x3e9e377a, v37
	s_waitcnt lgkmcnt(0)
	; wave barrier
	ds_write2_b64 v131, v[11:12], v[15:16] offset1:55
	ds_write2_b64 v131, v[17:18], v[5:6] offset0:110 offset1:165
	ds_write2_b64 v4, v[13:14], v[19:20] offset0:92 offset1:147
	;; [unrolled: 1-line block ×4, first 2 shown]
	v_add_u32_e32 v5, 0x1000, v138
	ds_write2_b64 v5, v[27:28], v[31:32] offset0:38 offset1:93
	ds_write2_b64 v5, v[33:34], v[9:10] offset0:148 offset1:203
	ds_write_b64 v138, v[29:30] offset:6160
	s_waitcnt lgkmcnt(0)
	; wave barrier
	s_waitcnt lgkmcnt(0)
	ds_read2_b64 v[5:8], v131 offset1:55
	ds_read2_b64 v[9:12], v4 offset0:92 offset1:147
	ds_read2_b64 v[13:16], v2 offset0:38 offset1:93
	;; [unrolled: 1-line block ×6, first 2 shown]
	ds_read_b64 v[33:34], v131 offset:6160
	s_waitcnt lgkmcnt(6)
	v_mul_f32_e32 v35, v53, v12
	v_fmac_f32_e32 v35, v52, v11
	v_mul_f32_e32 v11, v53, v11
	v_fma_f32 v36, v52, v12, -v11
	s_waitcnt lgkmcnt(5)
	v_mul_f32_e32 v11, v55, v13
	v_mul_f32_e32 v37, v55, v14
	v_fma_f32 v14, v54, v14, -v11
	s_waitcnt lgkmcnt(4)
	v_mul_f32_e32 v11, v57, v17
	v_mul_f32_e32 v38, v57, v18
	v_fma_f32 v18, v56, v18, -v11
	v_mul_f32_e32 v11, v59, v15
	v_fma_f32 v40, v58, v16, -v11
	;; [unrolled: 2-line block ×3, first 2 shown]
	s_waitcnt lgkmcnt(2)
	v_mul_f32_e32 v11, v63, v25
	v_mul_f32_e32 v43, v63, v26
	v_fma_f32 v26, v62, v26, -v11
	s_waitcnt lgkmcnt(1)
	v_mul_f32_e32 v11, v65, v29
	v_mul_f32_e32 v44, v65, v30
	v_fma_f32 v30, v64, v30, -v11
	v_mul_f32_e32 v11, v67, v27
	v_fmac_f32_e32 v37, v54, v13
	v_fma_f32 v46, v66, v28, -v11
	v_mul_f32_e32 v11, v69, v31
	v_fma_f32 v48, v68, v32, -v11
	s_waitcnt lgkmcnt(0)
	v_mul_f32_e32 v11, v71, v33
	v_add_f32_e32 v12, v35, v37
	v_mul_f32_e32 v49, v71, v34
	v_fma_f32 v34, v70, v34, -v11
	v_add_f32_e32 v11, v5, v35
	v_fma_f32 v5, -0.5, v12, v5
	v_sub_f32_e32 v12, v36, v14
	v_mov_b32_e32 v13, v5
	v_fmac_f32_e32 v13, 0xbf5db3d7, v12
	v_fmac_f32_e32 v5, 0x3f5db3d7, v12
	v_add_f32_e32 v12, v6, v36
	v_mul_f32_e32 v39, v59, v16
	v_add_f32_e32 v12, v12, v14
	v_add_f32_e32 v14, v36, v14
	v_fmac_f32_e32 v38, v56, v17
	v_fmac_f32_e32 v39, v58, v15
	v_fma_f32 v6, -0.5, v14, v6
	v_sub_f32_e32 v15, v35, v37
	v_mov_b32_e32 v14, v6
	v_add_f32_e32 v16, v38, v39
	v_fmac_f32_e32 v14, 0x3f5db3d7, v15
	v_fmac_f32_e32 v6, 0xbf5db3d7, v15
	v_add_f32_e32 v15, v7, v38
	v_fma_f32 v7, -0.5, v16, v7
	v_sub_f32_e32 v16, v18, v40
	v_mov_b32_e32 v17, v7
	v_mul_f32_e32 v41, v61, v20
	v_fmac_f32_e32 v17, 0xbf5db3d7, v16
	v_fmac_f32_e32 v7, 0x3f5db3d7, v16
	v_add_f32_e32 v16, v8, v18
	v_add_f32_e32 v18, v18, v40
	v_fmac_f32_e32 v41, v60, v19
	v_fmac_f32_e32 v43, v62, v25
	v_fmac_f32_e32 v8, -0.5, v18
	v_sub_f32_e32 v19, v38, v39
	v_mov_b32_e32 v18, v8
	v_add_f32_e32 v20, v41, v43
	v_fmac_f32_e32 v18, 0x3f5db3d7, v19
	v_fmac_f32_e32 v8, 0xbf5db3d7, v19
	v_add_f32_e32 v19, v21, v41
	v_fma_f32 v21, -0.5, v20, v21
	v_sub_f32_e32 v20, v42, v26
	v_mov_b32_e32 v25, v21
	v_fmac_f32_e32 v25, 0xbf5db3d7, v20
	v_fmac_f32_e32 v21, 0x3f5db3d7, v20
	v_add_f32_e32 v20, v22, v42
	v_mul_f32_e32 v45, v67, v28
	v_add_f32_e32 v20, v20, v26
	v_add_f32_e32 v26, v42, v26
	v_fmac_f32_e32 v44, v64, v29
	v_fmac_f32_e32 v45, v66, v27
	v_fma_f32 v22, -0.5, v26, v22
	v_sub_f32_e32 v27, v41, v43
	v_mov_b32_e32 v26, v22
	v_add_f32_e32 v28, v44, v45
	v_fmac_f32_e32 v26, 0x3f5db3d7, v27
	v_fmac_f32_e32 v22, 0xbf5db3d7, v27
	v_add_f32_e32 v27, v23, v44
	v_fma_f32 v23, -0.5, v28, v23
	v_sub_f32_e32 v28, v30, v46
	v_mov_b32_e32 v29, v23
	v_mul_f32_e32 v47, v69, v32
	v_fmac_f32_e32 v29, 0xbf5db3d7, v28
	v_fmac_f32_e32 v23, 0x3f5db3d7, v28
	v_add_f32_e32 v28, v24, v30
	v_add_f32_e32 v30, v30, v46
	v_fmac_f32_e32 v47, v68, v31
	v_fmac_f32_e32 v49, v70, v33
	v_fmac_f32_e32 v24, -0.5, v30
	v_sub_f32_e32 v31, v44, v45
	v_mov_b32_e32 v30, v24
	v_add_f32_e32 v32, v47, v49
	v_fmac_f32_e32 v30, 0x3f5db3d7, v31
	v_fmac_f32_e32 v24, 0xbf5db3d7, v31
	v_add_f32_e32 v31, v9, v47
	v_fma_f32 v9, -0.5, v32, v9
	v_sub_f32_e32 v32, v48, v34
	v_mov_b32_e32 v33, v9
	v_fmac_f32_e32 v33, 0xbf5db3d7, v32
	v_fmac_f32_e32 v9, 0x3f5db3d7, v32
	v_add_f32_e32 v32, v10, v48
	v_add_f32_e32 v32, v32, v34
	;; [unrolled: 1-line block ×3, first 2 shown]
	v_fmac_f32_e32 v10, -0.5, v34
	v_sub_f32_e32 v35, v47, v49
	v_mov_b32_e32 v34, v10
	v_add_f32_e32 v11, v11, v37
	v_add_f32_e32 v15, v15, v39
	;; [unrolled: 1-line block ×7, first 2 shown]
	v_fmac_f32_e32 v34, 0x3f5db3d7, v35
	v_fmac_f32_e32 v10, 0xbf5db3d7, v35
	ds_write_b64 v131, v[13:14] offset:2200
	ds_write_b64 v131, v[5:6] offset:4400
	ds_write2_b64 v131, v[11:12], v[15:16] offset1:55
	ds_write2_b64 v3, v[17:18], v[25:26] offset0:74 offset1:129
	ds_write2_b64 v2, v[7:8], v[21:22] offset0:93 offset1:148
	;; [unrolled: 1-line block ×3, first 2 shown]
	ds_write_b64 v131, v[23:24] offset:5720
	ds_write_b64 v131, v[31:32] offset:1760
	ds_write2_b64 v3, v[29:30], v[33:34] offset0:184 offset1:239
	ds_write_b64 v131, v[9:10] offset:6160
	s_waitcnt lgkmcnt(0)
	; wave barrier
	s_waitcnt lgkmcnt(0)
	ds_read2_b64 v[5:8], v131 offset1:75
	v_mad_u64_u32 v[0:1], s[2:3], s10, v118, 0
	v_mad_u64_u32 v[12:13], s[4:5], s8, v132, 0
	;; [unrolled: 1-line block ×3, first 2 shown]
	s_waitcnt lgkmcnt(0)
	v_mul_f32_e32 v1, v126, v6
	v_fmac_f32_e32 v1, v125, v5
	v_cvt_f64_f32_e32 v[10:11], v1
	v_mul_f32_e32 v1, v126, v5
	v_fma_f32 v1, v125, v6, -v1
	v_cvt_f64_f32_e32 v[5:6], v1
	s_mov_b32 s2, 0x3dc013dc
	s_mov_b32 s3, 0x3f53dc01
	v_mul_f64 v[10:11], v[10:11], s[2:3]
	v_mul_f64 v[5:6], v[5:6], s[2:3]
	v_mov_b32_e32 v1, v9
	v_mov_b32_e32 v9, v13
	v_lshlrev_b64 v[0:1], 3, v[0:1]
	s_movk_i32 s10, 0x1000
	v_mad_u64_u32 v[13:14], s[4:5], s9, v132, v[9:10]
	v_cvt_f32_f64_e32 v9, v[10:11]
	v_cvt_f32_f64_e32 v10, v[5:6]
	v_mul_f32_e32 v5, v124, v8
	v_fmac_f32_e32 v5, v123, v7
	v_cvt_f64_f32_e32 v[5:6], v5
	v_mul_f32_e32 v7, v124, v7
	v_fma_f32 v7, v123, v8, -v7
	v_mov_b32_e32 v11, s7
	v_cvt_f64_f32_e32 v[7:8], v7
	v_add_co_u32_e32 v14, vcc, s6, v0
	v_addc_co_u32_e32 v15, vcc, v11, v1, vcc
	v_mul_f64 v[0:1], v[5:6], s[2:3]
	v_lshlrev_b64 v[5:6], 3, v[12:13]
	v_mul_f64 v[11:12], v[7:8], s[2:3]
	v_add_co_u32_e32 v13, vcc, v14, v5
	v_addc_co_u32_e32 v14, vcc, v15, v6, vcc
	ds_read2_b64 v[5:8], v131 offset0:150 offset1:225
	global_store_dwordx2 v[13:14], v[9:10], off
	s_mul_i32 s4, s9, 0x4b
	s_mul_hi_u32 s5, s8, 0x4b
	v_cvt_f32_f64_e32 v0, v[0:1]
	s_waitcnt lgkmcnt(0)
	v_mul_f32_e32 v9, v122, v6
	v_fmac_f32_e32 v9, v121, v5
	v_mul_f32_e32 v5, v122, v5
	v_fma_f32 v5, v121, v6, -v5
	v_cvt_f64_f32_e32 v[5:6], v5
	v_cvt_f64_f32_e32 v[9:10], v9
	v_cvt_f32_f64_e32 v1, v[11:12]
	s_add_i32 s5, s5, s4
	v_mul_f64 v[5:6], v[5:6], s[2:3]
	v_mul_f64 v[9:10], v[9:10], s[2:3]
	s_mul_i32 s4, s8, 0x4b
	s_lshl_b64 s[4:5], s[4:5], 3
	v_mov_b32_e32 v18, s5
	v_add_co_u32_e32 v11, vcc, s4, v13
	v_addc_co_u32_e32 v12, vcc, v14, v18, vcc
	global_store_dwordx2 v[11:12], v[0:1], off
	v_cvt_f32_f64_e32 v1, v[5:6]
	v_mul_f32_e32 v5, v117, v8
	v_fmac_f32_e32 v5, v116, v7
	v_cvt_f32_f64_e32 v0, v[9:10]
	v_cvt_f64_f32_e32 v[9:10], v5
	v_mul_f32_e32 v5, v117, v7
	v_fma_f32 v5, v116, v8, -v5
	v_cvt_f64_f32_e32 v[13:14], v5
	ds_read2_b64 v[5:8], v3 offset0:44 offset1:119
	v_mul_f64 v[9:10], v[9:10], s[2:3]
	v_add_co_u32_e32 v11, vcc, s4, v11
	v_mul_f64 v[13:14], v[13:14], s[2:3]
	s_waitcnt lgkmcnt(0)
	v_mul_f32_e32 v15, v120, v6
	v_fmac_f32_e32 v15, v119, v5
	v_mul_f32_e32 v5, v120, v5
	v_fma_f32 v5, v119, v6, -v5
	v_cvt_f64_f32_e32 v[5:6], v5
	v_cvt_f64_f32_e32 v[15:16], v15
	v_addc_co_u32_e32 v12, vcc, v12, v18, vcc
	v_mul_f64 v[5:6], v[5:6], s[2:3]
	global_store_dwordx2 v[11:12], v[0:1], off
	v_cvt_f32_f64_e32 v0, v[9:10]
	v_cvt_f32_f64_e32 v1, v[13:14]
	v_mul_f64 v[9:10], v[15:16], s[2:3]
	v_add_co_u32_e32 v11, vcc, s4, v11
	v_addc_co_u32_e32 v12, vcc, v12, v18, vcc
	global_store_dwordx2 v[11:12], v[0:1], off
	v_cvt_f32_f64_e32 v1, v[5:6]
	v_mul_f32_e32 v5, v115, v8
	v_fmac_f32_e32 v5, v114, v7
	v_cvt_f64_f32_e32 v[13:14], v5
	v_mul_f32_e32 v5, v115, v7
	v_fma_f32 v5, v114, v8, -v5
	v_cvt_f64_f32_e32 v[15:16], v5
	v_add_u32_e32 v5, 0xc00, v131
	v_cvt_f32_f64_e32 v0, v[9:10]
	ds_read2_b64 v[6:9], v5 offset0:66 offset1:141
	v_add_co_u32_e32 v10, vcc, s4, v11
	v_addc_co_u32_e32 v11, vcc, v12, v18, vcc
	v_mul_f64 v[12:13], v[13:14], s[2:3]
	v_mul_f64 v[14:15], v[15:16], s[2:3]
	s_waitcnt lgkmcnt(0)
	v_mul_f32_e32 v16, v113, v7
	v_fmac_f32_e32 v16, v112, v6
	v_mul_f32_e32 v6, v113, v6
	v_fma_f32 v6, v112, v7, -v6
	v_cvt_f64_f32_e32 v[6:7], v6
	v_cvt_f64_f32_e32 v[16:17], v16
	global_store_dwordx2 v[10:11], v[0:1], off
	v_cvt_f32_f64_e32 v0, v[12:13]
	v_mul_f64 v[6:7], v[6:7], s[2:3]
	v_mul_f64 v[12:13], v[16:17], s[2:3]
	v_cvt_f32_f64_e32 v1, v[14:15]
	v_add_co_u32_e32 v10, vcc, s4, v10
	v_addc_co_u32_e32 v11, vcc, v11, v18, vcc
	global_store_dwordx2 v[10:11], v[0:1], off
	v_cvt_f32_f64_e32 v1, v[6:7]
	v_mul_f32_e32 v6, v111, v9
	v_fmac_f32_e32 v6, v110, v8
	v_cvt_f32_f64_e32 v0, v[12:13]
	v_cvt_f64_f32_e32 v[12:13], v6
	v_mul_f32_e32 v6, v111, v8
	v_fma_f32 v6, v110, v9, -v6
	v_cvt_f64_f32_e32 v[14:15], v6
	ds_read2_b64 v[6:9], v2 offset0:88 offset1:163
	v_mul_f64 v[12:13], v[12:13], s[2:3]
	v_add_co_u32_e32 v10, vcc, s4, v10
	v_mul_f64 v[14:15], v[14:15], s[2:3]
	s_waitcnt lgkmcnt(0)
	v_mul_f32_e32 v16, v109, v7
	v_fmac_f32_e32 v16, v108, v6
	v_mul_f32_e32 v6, v109, v6
	v_fma_f32 v6, v108, v7, -v6
	v_cvt_f64_f32_e32 v[6:7], v6
	v_cvt_f64_f32_e32 v[16:17], v16
	v_addc_co_u32_e32 v11, vcc, v11, v18, vcc
	v_mul_f64 v[6:7], v[6:7], s[2:3]
	global_store_dwordx2 v[10:11], v[0:1], off
	v_cvt_f32_f64_e32 v0, v[12:13]
	v_mul_f64 v[12:13], v[16:17], s[2:3]
	v_cvt_f32_f64_e32 v1, v[14:15]
	v_add_co_u32_e32 v10, vcc, s4, v10
	v_addc_co_u32_e32 v11, vcc, v11, v18, vcc
	global_store_dwordx2 v[10:11], v[0:1], off
	v_cvt_f32_f64_e32 v1, v[6:7]
	v_mul_f32_e32 v6, v107, v9
	v_fmac_f32_e32 v6, v106, v8
	v_cvt_f32_f64_e32 v0, v[12:13]
	v_cvt_f64_f32_e32 v[6:7], v6
	ds_read_b64 v[12:13], v131 offset:6000
	v_mul_f32_e32 v8, v107, v8
	v_fma_f32 v8, v106, v9, -v8
	v_mul_f64 v[6:7], v[6:7], s[2:3]
	v_cvt_f64_f32_e32 v[8:9], v8
	s_waitcnt lgkmcnt(0)
	v_mul_f32_e32 v14, v105, v13
	v_fmac_f32_e32 v14, v104, v12
	v_mul_f32_e32 v12, v105, v12
	v_fma_f32 v12, v104, v13, -v12
	v_cvt_f64_f32_e32 v[14:15], v14
	v_cvt_f64_f32_e32 v[12:13], v12
	v_add_co_u32_e32 v10, vcc, s4, v10
	v_mul_f64 v[8:9], v[8:9], s[2:3]
	v_addc_co_u32_e32 v11, vcc, v11, v18, vcc
	global_store_dwordx2 v[10:11], v[0:1], off
	v_cvt_f32_f64_e32 v0, v[6:7]
	v_mul_f64 v[6:7], v[14:15], s[2:3]
	v_mul_f64 v[12:13], v[12:13], s[2:3]
	v_cvt_f32_f64_e32 v1, v[8:9]
	v_add_co_u32_e32 v8, vcc, s4, v10
	v_addc_co_u32_e32 v9, vcc, v11, v18, vcc
	v_cvt_f32_f64_e32 v6, v[6:7]
	v_cvt_f32_f64_e32 v7, v[12:13]
	global_store_dwordx2 v[8:9], v[0:1], off
	v_add_co_u32_e32 v0, vcc, s4, v8
	v_addc_co_u32_e32 v1, vcc, v9, v18, vcc
	global_store_dwordx2 v[0:1], v[6:7], off
	s_and_b64 exec, exec, s[0:1]
	s_cbranch_execz .LBB0_15
; %bb.14:
	global_load_dwordx2 v[10:11], v[102:103], off offset:440
	ds_read2_b64 v[6:9], v131 offset0:55 offset1:130
	s_waitcnt vmcnt(0) lgkmcnt(0)
	v_mul_f32_e32 v12, v7, v11
	v_mul_f32_e32 v11, v6, v11
	v_fmac_f32_e32 v12, v6, v10
	v_fma_f32 v10, v10, v7, -v11
	v_cvt_f64_f32_e32 v[6:7], v12
	v_cvt_f64_f32_e32 v[10:11], v10
	v_mov_b32_e32 v12, 0xffffea48
	v_mad_u64_u32 v[0:1], s[0:1], s8, v12, v[0:1]
	v_mul_f64 v[6:7], v[6:7], s[2:3]
	v_mul_f64 v[10:11], v[10:11], s[2:3]
	s_mul_i32 s0, s9, 0xffffea48
	s_sub_i32 s0, s0, s8
	v_add_u32_e32 v1, s0, v1
	v_mov_b32_e32 v12, s5
	v_cvt_f32_f64_e32 v6, v[6:7]
	v_cvt_f32_f64_e32 v7, v[10:11]
	global_store_dwordx2 v[0:1], v[6:7], off
	global_load_dwordx2 v[6:7], v[102:103], off offset:1040
	v_add_co_u32_e32 v0, vcc, s4, v0
	v_addc_co_u32_e32 v1, vcc, v1, v12, vcc
	s_waitcnt vmcnt(0)
	v_mul_f32_e32 v10, v9, v7
	v_mul_f32_e32 v7, v8, v7
	v_fmac_f32_e32 v10, v8, v6
	v_fma_f32 v8, v6, v9, -v7
	v_cvt_f64_f32_e32 v[6:7], v10
	v_cvt_f64_f32_e32 v[8:9], v8
	v_mul_f64 v[6:7], v[6:7], s[2:3]
	v_mul_f64 v[8:9], v[8:9], s[2:3]
	v_cvt_f32_f64_e32 v6, v[6:7]
	v_cvt_f32_f64_e32 v7, v[8:9]
	global_store_dwordx2 v[0:1], v[6:7], off
	global_load_dwordx2 v[10:11], v[102:103], off offset:1640
	ds_read2_b64 v[6:9], v4 offset0:77 offset1:152
	v_add_co_u32_e32 v0, vcc, s4, v0
	v_addc_co_u32_e32 v1, vcc, v1, v12, vcc
	s_waitcnt vmcnt(0) lgkmcnt(0)
	v_mul_f32_e32 v4, v7, v11
	v_mul_f32_e32 v11, v6, v11
	v_fmac_f32_e32 v4, v6, v10
	v_fma_f32 v10, v10, v7, -v11
	v_cvt_f64_f32_e32 v[6:7], v4
	v_cvt_f64_f32_e32 v[10:11], v10
	v_mul_f64 v[6:7], v[6:7], s[2:3]
	v_mul_f64 v[10:11], v[10:11], s[2:3]
	v_cvt_f32_f64_e32 v6, v[6:7]
	v_cvt_f32_f64_e32 v7, v[10:11]
	global_store_dwordx2 v[0:1], v[6:7], off
	global_load_dwordx2 v[6:7], v[102:103], off offset:2240
	v_add_co_u32_e32 v0, vcc, s4, v0
	v_addc_co_u32_e32 v1, vcc, v1, v12, vcc
	s_waitcnt vmcnt(0)
	v_mul_f32_e32 v4, v9, v7
	v_mul_f32_e32 v7, v8, v7
	v_fmac_f32_e32 v4, v8, v6
	v_fma_f32 v8, v6, v9, -v7
	v_cvt_f64_f32_e32 v[6:7], v4
	v_cvt_f64_f32_e32 v[8:9], v8
	v_mul_f64 v[6:7], v[6:7], s[2:3]
	v_mul_f64 v[8:9], v[8:9], s[2:3]
	v_cvt_f32_f64_e32 v6, v[6:7]
	v_cvt_f32_f64_e32 v7, v[8:9]
	global_store_dwordx2 v[0:1], v[6:7], off
	global_load_dwordx2 v[10:11], v[102:103], off offset:2840
	ds_read2_b64 v[6:9], v3 offset0:99 offset1:174
	v_add_co_u32_e32 v0, vcc, s4, v0
	v_addc_co_u32_e32 v1, vcc, v1, v12, vcc
	s_waitcnt vmcnt(0) lgkmcnt(0)
	v_mul_f32_e32 v3, v7, v11
	v_mul_f32_e32 v4, v6, v11
	v_fmac_f32_e32 v3, v6, v10
	v_fma_f32 v6, v10, v7, -v4
	v_cvt_f64_f32_e32 v[3:4], v3
	v_cvt_f64_f32_e32 v[6:7], v6
	v_mul_f64 v[3:4], v[3:4], s[2:3]
	v_mul_f64 v[6:7], v[6:7], s[2:3]
	v_cvt_f32_f64_e32 v3, v[3:4]
	v_cvt_f32_f64_e32 v4, v[6:7]
	global_store_dwordx2 v[0:1], v[3:4], off
	global_load_dwordx2 v[3:4], v[102:103], off offset:3440
	v_add_co_u32_e32 v0, vcc, s4, v0
	v_addc_co_u32_e32 v1, vcc, v1, v12, vcc
	s_waitcnt vmcnt(0)
	v_mul_f32_e32 v6, v9, v4
	v_mul_f32_e32 v4, v8, v4
	v_fmac_f32_e32 v6, v8, v3
	v_fma_f32 v7, v3, v9, -v4
	v_cvt_f64_f32_e32 v[3:4], v6
	v_cvt_f64_f32_e32 v[6:7], v7
	v_mul_f64 v[3:4], v[3:4], s[2:3]
	v_mul_f64 v[6:7], v[6:7], s[2:3]
	v_cvt_f32_f64_e32 v3, v[3:4]
	v_cvt_f32_f64_e32 v4, v[6:7]
	global_store_dwordx2 v[0:1], v[3:4], off
	global_load_dwordx2 v[7:8], v[102:103], off offset:4040
	ds_read2_b64 v[3:6], v5 offset0:121 offset1:196
	s_waitcnt vmcnt(0) lgkmcnt(0)
	v_mul_f32_e32 v9, v4, v8
	v_mul_f32_e32 v8, v3, v8
	v_fmac_f32_e32 v9, v3, v7
	v_fma_f32 v7, v7, v4, -v8
	v_cvt_f64_f32_e32 v[3:4], v9
	v_cvt_f64_f32_e32 v[7:8], v7
	v_add_co_u32_e32 v9, vcc, s10, v102
	v_mul_f64 v[3:4], v[3:4], s[2:3]
	v_mul_f64 v[7:8], v[7:8], s[2:3]
	v_addc_co_u32_e32 v10, vcc, 0, v103, vcc
	v_add_co_u32_e32 v0, vcc, s4, v0
	v_addc_co_u32_e32 v1, vcc, v1, v12, vcc
	v_cvt_f32_f64_e32 v3, v[3:4]
	v_cvt_f32_f64_e32 v4, v[7:8]
	global_store_dwordx2 v[0:1], v[3:4], off
	global_load_dwordx2 v[3:4], v[9:10], off offset:544
	s_waitcnt vmcnt(0)
	v_mul_f32_e32 v7, v6, v4
	v_mul_f32_e32 v4, v5, v4
	v_fmac_f32_e32 v7, v5, v3
	v_fma_f32 v5, v3, v6, -v4
	v_cvt_f64_f32_e32 v[3:4], v7
	v_cvt_f64_f32_e32 v[5:6], v5
	v_mul_f64 v[3:4], v[3:4], s[2:3]
	v_mul_f64 v[5:6], v[5:6], s[2:3]
	v_cvt_f32_f64_e32 v3, v[3:4]
	v_cvt_f32_f64_e32 v4, v[5:6]
	v_add_co_u32_e32 v5, vcc, s4, v0
	v_addc_co_u32_e32 v6, vcc, v1, v12, vcc
	global_store_dwordx2 v[5:6], v[3:4], off
	global_load_dwordx2 v[7:8], v[9:10], off offset:1144
	ds_read2_b64 v[0:3], v2 offset0:143 offset1:218
	s_waitcnt vmcnt(0) lgkmcnt(0)
	v_mul_f32_e32 v4, v1, v8
	v_mul_f32_e32 v8, v0, v8
	v_fmac_f32_e32 v4, v0, v7
	v_fma_f32 v7, v7, v1, -v8
	v_cvt_f64_f32_e32 v[0:1], v4
	v_cvt_f64_f32_e32 v[7:8], v7
	v_add_co_u32_e32 v4, vcc, s4, v5
	v_mul_f64 v[0:1], v[0:1], s[2:3]
	v_mul_f64 v[7:8], v[7:8], s[2:3]
	v_addc_co_u32_e32 v5, vcc, v6, v12, vcc
	v_cvt_f32_f64_e32 v0, v[0:1]
	v_cvt_f32_f64_e32 v1, v[7:8]
	global_store_dwordx2 v[4:5], v[0:1], off
	global_load_dwordx2 v[0:1], v[9:10], off offset:1744
	s_waitcnt vmcnt(0)
	v_mul_f32_e32 v6, v3, v1
	v_mul_f32_e32 v1, v2, v1
	v_fmac_f32_e32 v6, v2, v0
	v_fma_f32 v2, v0, v3, -v1
	v_cvt_f64_f32_e32 v[0:1], v6
	v_cvt_f64_f32_e32 v[2:3], v2
	v_mul_f64 v[0:1], v[0:1], s[2:3]
	v_mul_f64 v[2:3], v[2:3], s[2:3]
	v_cvt_f32_f64_e32 v0, v[0:1]
	v_cvt_f32_f64_e32 v1, v[2:3]
	v_add_co_u32_e32 v2, vcc, s4, v4
	v_addc_co_u32_e32 v3, vcc, v5, v12, vcc
	global_store_dwordx2 v[2:3], v[0:1], off
	global_load_dwordx2 v[0:1], v[9:10], off offset:2344
	ds_read_b64 v[4:5], v131 offset:6440
	v_add_co_u32_e32 v2, vcc, s4, v2
	v_addc_co_u32_e32 v3, vcc, v3, v12, vcc
	s_waitcnt vmcnt(0) lgkmcnt(0)
	v_mul_f32_e32 v6, v5, v1
	v_mul_f32_e32 v1, v4, v1
	v_fmac_f32_e32 v6, v4, v0
	v_fma_f32 v4, v0, v5, -v1
	v_cvt_f64_f32_e32 v[0:1], v6
	v_cvt_f64_f32_e32 v[4:5], v4
	v_mul_f64 v[0:1], v[0:1], s[2:3]
	v_mul_f64 v[4:5], v[4:5], s[2:3]
	v_cvt_f32_f64_e32 v0, v[0:1]
	v_cvt_f32_f64_e32 v1, v[4:5]
	global_store_dwordx2 v[2:3], v[0:1], off
.LBB0_15:
	s_endpgm
	.section	.rodata,"a",@progbits
	.p2align	6, 0x0
	.amdhsa_kernel bluestein_single_back_len825_dim1_sp_op_CI_CI
		.amdhsa_group_segment_fixed_size 6600
		.amdhsa_private_segment_fixed_size 0
		.amdhsa_kernarg_size 104
		.amdhsa_user_sgpr_count 6
		.amdhsa_user_sgpr_private_segment_buffer 1
		.amdhsa_user_sgpr_dispatch_ptr 0
		.amdhsa_user_sgpr_queue_ptr 0
		.amdhsa_user_sgpr_kernarg_segment_ptr 1
		.amdhsa_user_sgpr_dispatch_id 0
		.amdhsa_user_sgpr_flat_scratch_init 0
		.amdhsa_user_sgpr_private_segment_size 0
		.amdhsa_uses_dynamic_stack 0
		.amdhsa_system_sgpr_private_segment_wavefront_offset 0
		.amdhsa_system_sgpr_workgroup_id_x 1
		.amdhsa_system_sgpr_workgroup_id_y 0
		.amdhsa_system_sgpr_workgroup_id_z 0
		.amdhsa_system_sgpr_workgroup_info 0
		.amdhsa_system_vgpr_workitem_id 0
		.amdhsa_next_free_vgpr 185
		.amdhsa_next_free_sgpr 20
		.amdhsa_reserve_vcc 1
		.amdhsa_reserve_flat_scratch 0
		.amdhsa_float_round_mode_32 0
		.amdhsa_float_round_mode_16_64 0
		.amdhsa_float_denorm_mode_32 3
		.amdhsa_float_denorm_mode_16_64 3
		.amdhsa_dx10_clamp 1
		.amdhsa_ieee_mode 1
		.amdhsa_fp16_overflow 0
		.amdhsa_exception_fp_ieee_invalid_op 0
		.amdhsa_exception_fp_denorm_src 0
		.amdhsa_exception_fp_ieee_div_zero 0
		.amdhsa_exception_fp_ieee_overflow 0
		.amdhsa_exception_fp_ieee_underflow 0
		.amdhsa_exception_fp_ieee_inexact 0
		.amdhsa_exception_int_div_zero 0
	.end_amdhsa_kernel
	.text
.Lfunc_end0:
	.size	bluestein_single_back_len825_dim1_sp_op_CI_CI, .Lfunc_end0-bluestein_single_back_len825_dim1_sp_op_CI_CI
                                        ; -- End function
	.section	.AMDGPU.csdata,"",@progbits
; Kernel info:
; codeLenInByte = 20992
; NumSgprs: 24
; NumVgprs: 185
; ScratchSize: 0
; MemoryBound: 0
; FloatMode: 240
; IeeeMode: 1
; LDSByteSize: 6600 bytes/workgroup (compile time only)
; SGPRBlocks: 2
; VGPRBlocks: 46
; NumSGPRsForWavesPerEU: 24
; NumVGPRsForWavesPerEU: 185
; Occupancy: 1
; WaveLimiterHint : 1
; COMPUTE_PGM_RSRC2:SCRATCH_EN: 0
; COMPUTE_PGM_RSRC2:USER_SGPR: 6
; COMPUTE_PGM_RSRC2:TRAP_HANDLER: 0
; COMPUTE_PGM_RSRC2:TGID_X_EN: 1
; COMPUTE_PGM_RSRC2:TGID_Y_EN: 0
; COMPUTE_PGM_RSRC2:TGID_Z_EN: 0
; COMPUTE_PGM_RSRC2:TIDIG_COMP_CNT: 0
	.type	__hip_cuid_29c4b5a0b47e241,@object ; @__hip_cuid_29c4b5a0b47e241
	.section	.bss,"aw",@nobits
	.globl	__hip_cuid_29c4b5a0b47e241
__hip_cuid_29c4b5a0b47e241:
	.byte	0                               ; 0x0
	.size	__hip_cuid_29c4b5a0b47e241, 1

	.ident	"AMD clang version 19.0.0git (https://github.com/RadeonOpenCompute/llvm-project roc-6.4.0 25133 c7fe45cf4b819c5991fe208aaa96edf142730f1d)"
	.section	".note.GNU-stack","",@progbits
	.addrsig
	.addrsig_sym __hip_cuid_29c4b5a0b47e241
	.amdgpu_metadata
---
amdhsa.kernels:
  - .args:
      - .actual_access:  read_only
        .address_space:  global
        .offset:         0
        .size:           8
        .value_kind:     global_buffer
      - .actual_access:  read_only
        .address_space:  global
        .offset:         8
        .size:           8
        .value_kind:     global_buffer
      - .actual_access:  read_only
        .address_space:  global
        .offset:         16
        .size:           8
        .value_kind:     global_buffer
      - .actual_access:  read_only
        .address_space:  global
        .offset:         24
        .size:           8
        .value_kind:     global_buffer
      - .actual_access:  read_only
        .address_space:  global
        .offset:         32
        .size:           8
        .value_kind:     global_buffer
      - .offset:         40
        .size:           8
        .value_kind:     by_value
      - .address_space:  global
        .offset:         48
        .size:           8
        .value_kind:     global_buffer
      - .address_space:  global
        .offset:         56
        .size:           8
        .value_kind:     global_buffer
      - .address_space:  global
        .offset:         64
        .size:           8
        .value_kind:     global_buffer
      - .address_space:  global
        .offset:         72
        .size:           8
        .value_kind:     global_buffer
      - .offset:         80
        .size:           4
        .value_kind:     by_value
      - .address_space:  global
        .offset:         88
        .size:           8
        .value_kind:     global_buffer
      - .address_space:  global
        .offset:         96
        .size:           8
        .value_kind:     global_buffer
    .group_segment_fixed_size: 6600
    .kernarg_segment_align: 8
    .kernarg_segment_size: 104
    .language:       OpenCL C
    .language_version:
      - 2
      - 0
    .max_flat_workgroup_size: 55
    .name:           bluestein_single_back_len825_dim1_sp_op_CI_CI
    .private_segment_fixed_size: 0
    .sgpr_count:     24
    .sgpr_spill_count: 0
    .symbol:         bluestein_single_back_len825_dim1_sp_op_CI_CI.kd
    .uniform_work_group_size: 1
    .uses_dynamic_stack: false
    .vgpr_count:     185
    .vgpr_spill_count: 0
    .wavefront_size: 64
amdhsa.target:   amdgcn-amd-amdhsa--gfx906
amdhsa.version:
  - 1
  - 2
...

	.end_amdgpu_metadata
